;; amdgpu-corpus repo=ROCm/rocFFT kind=compiled arch=gfx950 opt=O3
	.text
	.amdgcn_target "amdgcn-amd-amdhsa--gfx950"
	.amdhsa_code_object_version 6
	.protected	fft_rtc_back_len936_factors_2_2_13_2_3_3_wgs_234_tpt_78_halfLds_dp_ip_CI_unitstride_sbrr_R2C_dirReg ; -- Begin function fft_rtc_back_len936_factors_2_2_13_2_3_3_wgs_234_tpt_78_halfLds_dp_ip_CI_unitstride_sbrr_R2C_dirReg
	.globl	fft_rtc_back_len936_factors_2_2_13_2_3_3_wgs_234_tpt_78_halfLds_dp_ip_CI_unitstride_sbrr_R2C_dirReg
	.p2align	8
	.type	fft_rtc_back_len936_factors_2_2_13_2_3_3_wgs_234_tpt_78_halfLds_dp_ip_CI_unitstride_sbrr_R2C_dirReg,@function
fft_rtc_back_len936_factors_2_2_13_2_3_3_wgs_234_tpt_78_halfLds_dp_ip_CI_unitstride_sbrr_R2C_dirReg: ; @fft_rtc_back_len936_factors_2_2_13_2_3_3_wgs_234_tpt_78_halfLds_dp_ip_CI_unitstride_sbrr_R2C_dirReg
; %bb.0:
	s_load_dwordx2 s[8:9], s[0:1], 0x50
	s_load_dwordx4 s[4:7], s[0:1], 0x0
	s_load_dwordx2 s[10:11], s[0:1], 0x18
	v_mul_u32_u24_e32 v1, 0x349, v0
	v_lshrrev_b32_e32 v2, 16, v1
	v_mad_u64_u32 v[2:3], s[2:3], s2, 3, v[2:3]
	v_mov_b32_e32 v6, 0
	v_mov_b32_e32 v3, v6
	s_waitcnt lgkmcnt(0)
	v_cmp_lt_u64_e64 s[2:3], s[6:7], 2
	s_and_b64 vcc, exec, s[2:3]
	v_mov_b64_e32 v[4:5], 0
	v_mov_b64_e32 v[10:11], v[2:3]
	s_cbranch_vccnz .LBB0_8
; %bb.1:
	s_load_dwordx2 s[2:3], s[0:1], 0x10
	s_add_u32 s12, s10, 8
	s_addc_u32 s13, s11, 0
	s_mov_b64 s[14:15], 1
	v_mov_b64_e32 v[4:5], 0
	s_waitcnt lgkmcnt(0)
	s_add_u32 s16, s2, 8
	s_addc_u32 s17, s3, 0
	v_mov_b64_e32 v[8:9], v[2:3]
.LBB0_2:                                ; =>This Inner Loop Header: Depth=1
	s_load_dwordx2 s[18:19], s[16:17], 0x0
                                        ; implicit-def: $vgpr10_vgpr11
	s_waitcnt lgkmcnt(0)
	v_or_b32_e32 v7, s19, v9
	v_cmp_ne_u64_e32 vcc, 0, v[6:7]
	s_and_saveexec_b64 s[2:3], vcc
	s_xor_b64 s[20:21], exec, s[2:3]
	s_cbranch_execz .LBB0_4
; %bb.3:                                ;   in Loop: Header=BB0_2 Depth=1
	v_cvt_f32_u32_e32 v1, s18
	v_cvt_f32_u32_e32 v3, s19
	s_sub_u32 s2, 0, s18
	s_subb_u32 s3, 0, s19
	v_fmac_f32_e32 v1, 0x4f800000, v3
	v_rcp_f32_e32 v1, v1
	s_nop 0
	v_mul_f32_e32 v1, 0x5f7ffffc, v1
	v_mul_f32_e32 v3, 0x2f800000, v1
	v_trunc_f32_e32 v3, v3
	v_fmac_f32_e32 v1, 0xcf800000, v3
	v_cvt_u32_f32_e32 v3, v3
	v_cvt_u32_f32_e32 v1, v1
	v_mul_lo_u32 v7, s2, v3
	v_mul_hi_u32 v10, s2, v1
	v_mul_lo_u32 v11, s3, v1
	v_add_u32_e32 v7, v10, v7
	v_mul_lo_u32 v14, s2, v1
	v_add_u32_e32 v7, v7, v11
	v_mul_hi_u32 v10, v1, v14
	v_mul_hi_u32 v13, v1, v7
	v_mul_lo_u32 v12, v1, v7
	v_mov_b32_e32 v11, v6
	v_lshl_add_u64 v[10:11], v[10:11], 0, v[12:13]
	v_mul_hi_u32 v13, v3, v14
	v_mul_lo_u32 v14, v3, v14
	v_add_co_u32_e32 v10, vcc, v10, v14
	v_mul_hi_u32 v12, v3, v7
	s_nop 0
	v_addc_co_u32_e32 v10, vcc, v11, v13, vcc
	v_mov_b32_e32 v11, v6
	s_nop 0
	v_addc_co_u32_e32 v13, vcc, 0, v12, vcc
	v_mul_lo_u32 v12, v3, v7
	v_lshl_add_u64 v[10:11], v[10:11], 0, v[12:13]
	v_add_co_u32_e32 v1, vcc, v1, v10
	v_mul_hi_u32 v10, s2, v1
	s_nop 0
	v_addc_co_u32_e32 v3, vcc, v3, v11, vcc
	v_mul_lo_u32 v7, s2, v3
	v_add_u32_e32 v7, v10, v7
	v_mul_lo_u32 v10, s3, v1
	v_add_u32_e32 v7, v7, v10
	v_mul_lo_u32 v12, s2, v1
	v_mul_hi_u32 v15, v3, v12
	v_mul_lo_u32 v16, v3, v12
	v_mul_hi_u32 v11, v1, v7
	;; [unrolled: 2-line block ×3, first 2 shown]
	v_mov_b32_e32 v13, v6
	v_lshl_add_u64 v[10:11], v[12:13], 0, v[10:11]
	v_add_co_u32_e32 v10, vcc, v10, v16
	v_mul_hi_u32 v14, v3, v7
	s_nop 0
	v_addc_co_u32_e32 v10, vcc, v11, v15, vcc
	v_mul_lo_u32 v12, v3, v7
	s_nop 0
	v_addc_co_u32_e32 v13, vcc, 0, v14, vcc
	v_mov_b32_e32 v11, v6
	v_lshl_add_u64 v[10:11], v[10:11], 0, v[12:13]
	v_add_co_u32_e32 v1, vcc, v1, v10
	v_mul_hi_u32 v12, v8, v1
	s_nop 0
	v_addc_co_u32_e32 v3, vcc, v3, v11, vcc
	v_mad_u64_u32 v[10:11], s[2:3], v8, v3, 0
	v_mov_b32_e32 v13, v6
	v_lshl_add_u64 v[10:11], v[12:13], 0, v[10:11]
	v_mad_u64_u32 v[14:15], s[2:3], v9, v1, 0
	v_add_co_u32_e32 v1, vcc, v10, v14
	v_mad_u64_u32 v[12:13], s[2:3], v9, v3, 0
	s_nop 0
	v_addc_co_u32_e32 v10, vcc, v11, v15, vcc
	v_mov_b32_e32 v11, v6
	s_nop 0
	v_addc_co_u32_e32 v13, vcc, 0, v13, vcc
	v_lshl_add_u64 v[10:11], v[10:11], 0, v[12:13]
	v_mul_lo_u32 v1, s19, v10
	v_mul_lo_u32 v3, s18, v11
	v_mad_u64_u32 v[12:13], s[2:3], s18, v10, 0
	v_add3_u32 v1, v13, v3, v1
	v_sub_u32_e32 v3, v9, v1
	v_mov_b32_e32 v7, s19
	v_sub_co_u32_e32 v16, vcc, v8, v12
	v_lshl_add_u64 v[14:15], v[10:11], 0, 1
	s_nop 0
	v_subb_co_u32_e64 v3, s[2:3], v3, v7, vcc
	v_subrev_co_u32_e64 v7, s[2:3], s18, v16
	v_subb_co_u32_e32 v1, vcc, v9, v1, vcc
	s_nop 0
	v_subbrev_co_u32_e64 v3, s[2:3], 0, v3, s[2:3]
	v_cmp_le_u32_e64 s[2:3], s19, v3
	v_cmp_le_u32_e32 vcc, s19, v1
	s_nop 0
	v_cndmask_b32_e64 v12, 0, -1, s[2:3]
	v_cmp_le_u32_e64 s[2:3], s18, v7
	s_nop 1
	v_cndmask_b32_e64 v7, 0, -1, s[2:3]
	v_cmp_eq_u32_e64 s[2:3], s19, v3
	s_nop 1
	v_cndmask_b32_e64 v3, v12, v7, s[2:3]
	v_lshl_add_u64 v[12:13], v[10:11], 0, 2
	v_cmp_ne_u32_e64 s[2:3], 0, v3
	v_cndmask_b32_e64 v7, 0, -1, vcc
	v_cmp_le_u32_e32 vcc, s18, v16
	v_cndmask_b32_e64 v3, v15, v13, s[2:3]
	s_nop 0
	v_cndmask_b32_e64 v13, 0, -1, vcc
	v_cmp_eq_u32_e32 vcc, s19, v1
	s_nop 1
	v_cndmask_b32_e32 v1, v7, v13, vcc
	v_cmp_ne_u32_e32 vcc, 0, v1
	v_cndmask_b32_e64 v1, v14, v12, s[2:3]
	s_nop 0
	v_cndmask_b32_e32 v11, v11, v3, vcc
	v_cndmask_b32_e32 v10, v10, v1, vcc
.LBB0_4:                                ;   in Loop: Header=BB0_2 Depth=1
	s_andn2_saveexec_b64 s[2:3], s[20:21]
	s_cbranch_execz .LBB0_6
; %bb.5:                                ;   in Loop: Header=BB0_2 Depth=1
	v_cvt_f32_u32_e32 v1, s18
	s_sub_i32 s20, 0, s18
	v_mov_b32_e32 v11, v6
	v_rcp_iflag_f32_e32 v1, v1
	s_nop 0
	v_mul_f32_e32 v1, 0x4f7ffffe, v1
	v_cvt_u32_f32_e32 v1, v1
	v_mul_lo_u32 v3, s20, v1
	v_mul_hi_u32 v3, v1, v3
	v_add_u32_e32 v1, v1, v3
	v_mul_hi_u32 v1, v8, v1
	v_mul_lo_u32 v3, v1, s18
	v_sub_u32_e32 v3, v8, v3
	v_add_u32_e32 v7, 1, v1
	v_subrev_u32_e32 v10, s18, v3
	v_cmp_le_u32_e32 vcc, s18, v3
	s_nop 1
	v_cndmask_b32_e32 v3, v3, v10, vcc
	v_cndmask_b32_e32 v1, v1, v7, vcc
	v_add_u32_e32 v7, 1, v1
	v_cmp_le_u32_e32 vcc, s18, v3
	s_nop 1
	v_cndmask_b32_e32 v10, v1, v7, vcc
.LBB0_6:                                ;   in Loop: Header=BB0_2 Depth=1
	s_or_b64 exec, exec, s[2:3]
	v_mad_u64_u32 v[12:13], s[2:3], v10, s18, 0
	s_load_dwordx2 s[2:3], s[12:13], 0x0
	s_add_u32 s14, s14, 1
	v_mul_lo_u32 v1, v11, s18
	v_mul_lo_u32 v3, v10, s19
	s_addc_u32 s15, s15, 0
	v_add3_u32 v1, v13, v3, v1
	v_sub_co_u32_e32 v3, vcc, v8, v12
	s_add_u32 s12, s12, 8
	s_nop 0
	v_subb_co_u32_e32 v1, vcc, v9, v1, vcc
	s_addc_u32 s13, s13, 0
	v_mov_b64_e32 v[8:9], s[6:7]
	s_waitcnt lgkmcnt(0)
	v_mul_lo_u32 v1, s2, v1
	v_mul_lo_u32 v7, s3, v3
	v_mad_u64_u32 v[4:5], s[2:3], s2, v3, v[4:5]
	s_add_u32 s16, s16, 8
	v_cmp_ge_u64_e32 vcc, s[14:15], v[8:9]
	v_add3_u32 v5, v7, v5, v1
	s_addc_u32 s17, s17, 0
	s_cbranch_vccnz .LBB0_8
; %bb.7:                                ;   in Loop: Header=BB0_2 Depth=1
	v_mov_b64_e32 v[8:9], v[10:11]
	s_branch .LBB0_2
.LBB0_8:
	s_lshl_b64 s[2:3], s[6:7], 3
	s_add_u32 s2, s10, s2
	s_addc_u32 s3, s11, s3
	s_load_dwordx2 s[6:7], s[2:3], 0x0
	s_load_dwordx2 s[10:11], s[0:1], 0x20
	s_mov_b32 s2, 0x3483484
                                        ; implicit-def: $vgpr58_vgpr59
                                        ; implicit-def: $vgpr56
                                        ; implicit-def: $vgpr64
                                        ; implicit-def: $vgpr62
                                        ; implicit-def: $vgpr60
	s_waitcnt lgkmcnt(0)
	v_mad_u64_u32 v[4:5], s[0:1], s6, v10, v[4:5]
	v_mul_lo_u32 v1, s6, v11
	v_mul_lo_u32 v3, s7, v10
	s_mov_b32 s0, 0xaaaaaaab
	v_add3_u32 v5, v3, v5, v1
	v_mul_hi_u32 v1, v2, s0
	v_lshrrev_b32_e32 v1, 1, v1
	v_lshl_add_u32 v1, v1, 1, v1
	v_sub_u32_e32 v1, v2, v1
	v_mul_hi_u32 v2, v0, s2
	v_mul_u32_u24_e32 v2, 0x4e, v2
	v_cmp_gt_u64_e64 s[0:1], s[10:11], v[10:11]
	v_cmp_le_u64_e32 vcc, s[10:11], v[10:11]
	v_sub_u32_e32 v52, v0, v2
	s_and_saveexec_b64 s[2:3], vcc
	s_xor_b64 s[2:3], exec, s[2:3]
; %bb.9:
	v_add_u32_e32 v59, 0x186, v52
	v_add_u32_e32 v56, 0x4e, v52
	;; [unrolled: 1-line block ×5, first 2 shown]
	v_mov_b32_e32 v60, v59
; %bb.10:
	s_or_saveexec_b64 s[2:3], s[2:3]
	v_mul_u32_u24_e32 v0, 0x3a9, v1
	v_lshl_add_u64 v[54:55], v[4:5], 4, s[8:9]
	s_xor_b64 exec, exec, s[2:3]
	s_cbranch_execz .LBB0_12
; %bb.11:
	v_mov_b32_e32 v53, 0
	v_lshl_add_u64 v[42:43], v[52:53], 4, v[54:55]
	s_movk_i32 s6, 0x1000
	v_add_co_u32_e32 v44, vcc, s6, v42
	s_movk_i32 s6, 0x2000
	s_nop 0
	v_addc_co_u32_e32 v45, vcc, 0, v43, vcc
	v_add_u32_e32 v58, 0x138, v52
	v_add_co_u32_e32 v46, vcc, s6, v42
	v_add_u32_e32 v59, 0x186, v52
	v_mov_b32_e32 v18, v58
	v_mov_b32_e32 v19, v53
	v_addc_co_u32_e32 v47, vcc, 0, v43, vcc
	v_lshl_add_u64 v[26:27], v[18:19], 4, v[54:55]
	v_mov_b32_e32 v18, v59
	v_add_co_u32_e32 v50, vcc, 0x3000, v42
	v_lshl_add_u64 v[28:29], v[18:19], 4, v[54:55]
	s_nop 0
	v_addc_co_u32_e32 v51, vcc, 0, v43, vcc
	global_load_dwordx4 v[2:5], v[42:43], off
	global_load_dwordx4 v[6:9], v[42:43], off offset:1248
	global_load_dwordx4 v[10:13], v[42:43], off offset:2496
	;; [unrolled: 1-line block ×3, first 2 shown]
	global_load_dwordx4 v[18:21], v[26:27], off
	global_load_dwordx4 v[22:25], v[28:29], off
	s_nop 0
	global_load_dwordx4 v[26:29], v[44:45], off offset:3392
	global_load_dwordx4 v[30:33], v[46:47], off offset:544
	;; [unrolled: 1-line block ×4, first 2 shown]
	s_nop 0
	global_load_dwordx4 v[42:45], v[50:51], off offset:192
	global_load_dwordx4 v[46:49], v[50:51], off offset:1440
	v_lshl_add_u32 v1, v0, 4, 0
	v_add_u32_e32 v56, 0x4e, v52
	v_add_u32_e32 v64, 0x9c, v52
	;; [unrolled: 1-line block ×3, first 2 shown]
	v_lshl_add_u32 v50, v52, 4, v1
	v_mov_b32_e32 v60, v59
	v_lshl_add_u32 v51, v58, 4, v1
	v_lshl_add_u32 v1, v59, 4, v1
	s_waitcnt vmcnt(11)
	ds_write_b128 v50, v[2:5]
	s_waitcnt vmcnt(10)
	ds_write_b128 v50, v[6:9] offset:1248
	s_waitcnt vmcnt(9)
	ds_write_b128 v50, v[10:13] offset:2496
	;; [unrolled: 2-line block ×3, first 2 shown]
	s_waitcnt vmcnt(7)
	ds_write_b128 v51, v[18:21]
	s_waitcnt vmcnt(6)
	ds_write_b128 v1, v[22:25]
	s_waitcnt vmcnt(5)
	ds_write_b128 v50, v[26:29] offset:7488
	s_waitcnt vmcnt(4)
	ds_write_b128 v50, v[30:33] offset:8736
	;; [unrolled: 2-line block ×6, first 2 shown]
.LBB0_12:
	s_or_b64 exec, exec, s[2:3]
	v_lshlrev_b32_e32 v65, 4, v0
	v_add_u32_e32 v155, 0, v65
	v_lshlrev_b32_e32 v53, 4, v52
	v_add_u32_e32 v154, v155, v53
	v_add3_u32 v57, 0, v53, v65
	s_waitcnt lgkmcnt(0)
	s_barrier
	ds_read_b128 v[0:3], v154
	ds_read_b128 v[4:7], v57 offset:1248
	ds_read_b128 v[8:11], v57 offset:7488
	;; [unrolled: 1-line block ×11, first 2 shown]
	s_waitcnt lgkmcnt(9)
	v_add_f64 v[8:9], v[0:1], -v[8:9]
	v_add_f64 v[10:11], v[2:3], -v[10:11]
	v_fma_f64 v[0:1], v[0:1], 2.0, -v[8:9]
	v_fma_f64 v[2:3], v[2:3], 2.0, -v[10:11]
	v_add_u32_e32 v48, v57, v53
	s_waitcnt lgkmcnt(0)
	s_barrier
	ds_write_b128 v48, v[0:3]
	ds_write_b128 v48, v[8:11] offset:16
	v_add_f64 v[0:1], v[4:5], -v[12:13]
	v_add_f64 v[2:3], v[6:7], -v[14:15]
	;; [unrolled: 1-line block ×6, first 2 shown]
	v_fma_f64 v[4:5], v[4:5], 2.0, -v[0:1]
	v_fma_f64 v[6:7], v[6:7], 2.0, -v[2:3]
	;; [unrolled: 1-line block ×4, first 2 shown]
	v_add_f64 v[16:17], v[20:21], -v[28:29]
	v_add_f64 v[18:19], v[22:23], -v[30:31]
	v_fma_f64 v[28:29], v[32:33], 2.0, -v[24:25]
	v_fma_f64 v[30:31], v[34:35], 2.0, -v[26:27]
	v_add_f64 v[32:33], v[36:37], -v[44:45]
	v_add_f64 v[34:35], v[38:39], -v[46:47]
	v_lshl_add_u32 v40, v56, 5, v155
	v_and_b32_e32 v71, 1, v52
	v_fma_f64 v[20:21], v[20:21], 2.0, -v[16:17]
	v_fma_f64 v[22:23], v[22:23], 2.0, -v[18:19]
	;; [unrolled: 1-line block ×4, first 2 shown]
	ds_write_b128 v40, v[4:7]
	ds_write_b128 v40, v[0:3] offset:16
	v_lshl_add_u32 v48, v64, 5, v155
	v_lshl_add_u32 v49, v62, 5, v155
	;; [unrolled: 1-line block ×4, first 2 shown]
	v_lshlrev_b32_e32 v0, 4, v71
	ds_write_b128 v48, v[12:15]
	ds_write_b128 v48, v[8:11] offset:16
	ds_write_b128 v49, v[20:23]
	ds_write_b128 v49, v[16:19] offset:16
	;; [unrolled: 2-line block ×4, first 2 shown]
	s_waitcnt lgkmcnt(0)
	s_barrier
	global_load_dwordx4 v[0:3], v0, s[4:5]
	v_lshlrev_b32_e32 v4, 4, v56
	v_sub_u32_e32 v61, v40, v4
	ds_read_b128 v[8:11], v154
	ds_read_b128 v[4:7], v57 offset:7488
	ds_read_b128 v[12:15], v57 offset:8736
	;; [unrolled: 1-line block ×5, first 2 shown]
	s_movk_i32 s2, 0xfc
	v_lshlrev_b32_e32 v72, 1, v52
	v_lshlrev_b32_e32 v70, 1, v56
	s_waitcnt vmcnt(0) lgkmcnt(4)
	v_mul_f64 v[28:29], v[6:7], v[2:3]
	v_mul_f64 v[30:31], v[4:5], v[2:3]
	v_fmac_f64_e32 v[28:29], v[4:5], v[0:1]
	s_waitcnt lgkmcnt(1)
	v_mul_f64 v[4:5], v[20:21], v[2:3]
	v_mul_f64 v[36:37], v[18:19], v[2:3]
	;; [unrolled: 1-line block ×3, first 2 shown]
	v_fma_f64 v[30:31], v[6:7], v[0:1], -v[30:31]
	v_fma_f64 v[42:43], v[22:23], v[0:1], -v[4:5]
	ds_read_b128 v[4:7], v57 offset:13728
	v_fmac_f64_e32 v[36:37], v[16:17], v[0:1]
	v_fma_f64 v[38:39], v[18:19], v[0:1], -v[38:39]
	ds_read_b128 v[16:19], v61
	v_mul_f64 v[32:33], v[14:15], v[2:3]
	v_mul_f64 v[34:35], v[12:13], v[2:3]
	;; [unrolled: 1-line block ×3, first 2 shown]
	v_fmac_f64_e32 v[32:33], v[12:13], v[0:1]
	s_waitcnt lgkmcnt(2)
	v_mul_f64 v[44:45], v[26:27], v[2:3]
	v_mul_f64 v[12:13], v[24:25], v[2:3]
	s_waitcnt lgkmcnt(1)
	v_mul_f64 v[66:67], v[6:7], v[2:3]
	v_mul_f64 v[2:3], v[4:5], v[2:3]
	v_fma_f64 v[14:15], v[14:15], v[0:1], -v[34:35]
	v_fmac_f64_e32 v[40:41], v[20:21], v[0:1]
	v_fmac_f64_e32 v[44:45], v[24:25], v[0:1]
	v_fma_f64 v[46:47], v[26:27], v[0:1], -v[12:13]
	v_fmac_f64_e32 v[66:67], v[4:5], v[0:1]
	v_fma_f64 v[68:69], v[6:7], v[0:1], -v[2:3]
	v_lshlrev_b32_e32 v0, 4, v64
	v_add_f64 v[4:5], v[8:9], -v[28:29]
	s_waitcnt lgkmcnt(0)
	v_add_f64 v[12:13], v[16:17], -v[32:33]
	v_sub_u32_e32 v63, v48, v0
	v_fma_f64 v[0:1], v[8:9], 2.0, -v[4:5]
	v_fma_f64 v[8:9], v[16:17], 2.0, -v[12:13]
	v_lshlrev_b32_e32 v16, 4, v62
	v_sub_u32_e32 v156, v49, v16
	ds_read_b128 v[24:27], v63
	ds_read_b128 v[32:35], v156
	v_add_f64 v[6:7], v[10:11], -v[30:31]
	v_add_f64 v[14:15], v[18:19], -v[14:15]
	v_fma_f64 v[2:3], v[10:11], 2.0, -v[6:7]
	s_waitcnt lgkmcnt(1)
	v_add_f64 v[20:21], v[24:25], -v[36:37]
	v_add_f64 v[22:23], v[26:27], -v[38:39]
	s_waitcnt lgkmcnt(0)
	v_add_f64 v[28:29], v[32:33], -v[40:41]
	v_fma_f64 v[10:11], v[18:19], 2.0, -v[14:15]
	v_fma_f64 v[16:17], v[24:25], 2.0, -v[20:21]
	;; [unrolled: 1-line block ×4, first 2 shown]
	v_lshlrev_b32_e32 v26, 4, v58
	v_lshlrev_b32_e32 v32, 4, v60
	v_sub_u32_e32 v157, v50, v26
	v_sub_u32_e32 v158, v51, v32
	v_add_f64 v[30:31], v[34:35], -v[42:43]
	ds_read_b128 v[40:43], v157
	ds_read_b128 v[48:51], v158
	s_waitcnt lgkmcnt(0)
	s_barrier
	v_add_f64 v[36:37], v[40:41], -v[44:45]
	v_add_f64 v[44:45], v[48:49], -v[66:67]
	v_fma_f64 v[32:33], v[40:41], 2.0, -v[36:37]
	v_fma_f64 v[40:41], v[48:49], 2.0, -v[44:45]
	v_and_or_b32 v48, v72, s2, v71
	v_lshl_add_u32 v48, v48, 4, v155
	s_movk_i32 s2, 0x1fc
	ds_write_b128 v48, v[0:3]
	ds_write_b128 v48, v[4:7] offset:32
	v_and_or_b32 v48, v70, s2, v71
	v_add_f64 v[38:39], v[42:43], -v[46:47]
	v_add_f64 v[46:47], v[50:51], -v[68:69]
	v_lshl_add_u32 v48, v48, 4, v155
	s_movk_i32 s2, 0x3fc
	v_lshlrev_b32_e32 v68, 1, v64
	ds_write_b128 v48, v[8:11]
	ds_write_b128 v48, v[12:15] offset:32
	v_and_or_b32 v48, v68, s2, v71
	v_lshl_add_u32 v48, v48, 4, v155
	v_lshlrev_b32_e32 v66, 1, v62
	ds_write_b128 v48, v[16:19]
	ds_write_b128 v48, v[20:23] offset:32
	v_and_or_b32 v48, v66, s2, v71
	v_fma_f64 v[26:27], v[34:35], 2.0, -v[30:31]
	v_lshl_add_u32 v48, v48, 4, v155
	ds_write_b128 v48, v[24:27]
	ds_write_b128 v48, v[28:31] offset:32
	v_lshlrev_b32_e32 v48, 1, v58
	v_and_or_b32 v48, v48, s2, v71
	v_fma_f64 v[34:35], v[42:43], 2.0, -v[38:39]
	v_lshl_add_u32 v48, v48, 4, v155
	ds_write_b128 v48, v[32:35]
	ds_write_b128 v48, v[36:39] offset:32
	s_movk_i32 s2, 0x7fc
	v_lshlrev_b32_e32 v48, 1, v60
	v_and_or_b32 v48, v48, s2, v71
	s_movk_i32 s2, 0x48
	v_fma_f64 v[42:43], v[50:51], 2.0, -v[46:47]
	v_lshl_add_u32 v48, v48, 4, v155
	v_cmp_gt_u32_e32 vcc, s2, v52
	ds_write_b128 v48, v[40:43]
	ds_write_b128 v48, v[44:47] offset:32
	s_waitcnt lgkmcnt(0)
	s_barrier
	s_waitcnt lgkmcnt(0)
                                        ; implicit-def: $vgpr50_vgpr51
	s_and_saveexec_b64 s[2:3], vcc
	s_cbranch_execz .LBB0_14
; %bb.13:
	ds_read_b128 v[0:3], v154
	ds_read_b128 v[4:7], v57 offset:1152
	ds_read_b128 v[8:11], v57 offset:2304
	;; [unrolled: 1-line block ×12, first 2 shown]
.LBB0_14:
	s_or_b64 exec, exec, s[2:3]
	s_waitcnt lgkmcnt(0)
	s_barrier
	s_and_saveexec_b64 s[2:3], vcc
	s_cbranch_execz .LBB0_16
; %bb.15:
	v_and_b32_e32 v67, 3, v52
	v_mul_u32_u24_e32 v69, 12, v67
	v_lshlrev_b32_e32 v69, 4, v69
	global_load_dwordx4 v[98:101], v69, s[4:5] offset:112
	global_load_dwordx4 v[102:105], v69, s[4:5] offset:128
	global_load_dwordx4 v[106:109], v69, s[4:5] offset:96
	global_load_dwordx4 v[110:113], v69, s[4:5] offset:144
	global_load_dwordx4 v[114:117], v69, s[4:5] offset:80
	global_load_dwordx4 v[118:121], v69, s[4:5] offset:160
	global_load_dwordx4 v[122:125], v69, s[4:5] offset:64
	global_load_dwordx4 v[126:129], v69, s[4:5] offset:176
	global_load_dwordx4 v[130:133], v69, s[4:5] offset:48
	global_load_dwordx4 v[134:137], v69, s[4:5] offset:192
	global_load_dwordx4 v[138:141], v69, s[4:5] offset:32
	global_load_dwordx4 v[142:145], v69, s[4:5] offset:208
	s_mov_b32 s16, 0x4bc48dbf
	s_mov_b32 s17, 0xbfcea1e5
	;; [unrolled: 1-line block ×32, first 2 shown]
	s_waitcnt vmcnt(11)
	v_mul_f64 v[74:75], v[26:27], v[100:101]
	v_mul_f64 v[100:101], v[24:25], v[100:101]
	s_waitcnt vmcnt(10)
	v_mul_f64 v[76:77], v[30:31], v[104:105]
	v_mul_f64 v[104:105], v[28:29], v[104:105]
	;; [unrolled: 3-line block ×5, first 2 shown]
	s_waitcnt vmcnt(1)
	v_mul_f64 v[96:97], v[6:7], v[140:141]
	s_waitcnt vmcnt(0)
	v_mul_f64 v[92:93], v[50:51], v[144:145]
	v_mul_f64 v[86:87], v[42:43], v[128:129]
	;; [unrolled: 1-line block ×7, first 2 shown]
	v_fmac_f64_e32 v[96:97], v[4:5], v[138:139]
	v_fmac_f64_e32 v[92:93], v[48:49], v[142:143]
	v_mul_f64 v[78:79], v[34:35], v[112:113]
	v_mul_f64 v[112:113], v[32:33], v[112:113]
	;; [unrolled: 1-line block ×4, first 2 shown]
	v_fmac_f64_e32 v[74:75], v[24:25], v[98:99]
	v_fma_f64 v[98:99], v[26:27], v[98:99], -v[100:101]
	v_fma_f64 v[100:101], v[30:31], v[102:103], -v[104:105]
	;; [unrolled: 1-line block ×3, first 2 shown]
	v_fmac_f64_e32 v[82:83], v[36:37], v[118:119]
	v_fma_f64 v[36:37], v[38:39], v[118:119], -v[120:121]
	v_fma_f64 v[108:109], v[14:15], v[122:123], -v[124:125]
	v_fma_f64 v[38:39], v[42:43], v[126:127], -v[128:129]
	v_fmac_f64_e32 v[94:95], v[8:9], v[130:131]
	v_fmac_f64_e32 v[88:89], v[44:45], v[134:135]
	v_fma_f64 v[44:45], v[6:7], v[138:139], -v[140:141]
	v_fma_f64 v[42:43], v[50:51], v[142:143], -v[144:145]
	v_add_f64 v[124:125], v[96:97], -v[92:93]
	v_fmac_f64_e32 v[76:77], v[28:29], v[102:103]
	v_fmac_f64_e32 v[78:79], v[32:33], v[110:111]
	v_fma_f64 v[102:103], v[34:35], v[110:111], -v[112:113]
	v_fmac_f64_e32 v[90:91], v[12:13], v[122:123]
	v_fmac_f64_e32 v[86:87], v[40:41], v[126:127]
	v_fma_f64 v[110:111], v[10:11], v[130:131], -v[132:133]
	v_fma_f64 v[40:41], v[46:47], v[134:135], -v[136:137]
	v_add_f64 v[126:127], v[94:95], -v[88:89]
	v_add_f64 v[50:51], v[44:45], v[42:43]
	v_mul_f64 v[10:11], v[124:125], s[16:17]
	v_mul_f64 v[84:85], v[18:19], v[116:117]
	v_add_f64 v[120:121], v[90:91], -v[86:87]
	v_add_f64 v[48:49], v[110:111], v[40:41]
	v_mul_f64 v[8:9], v[126:127], s[14:15]
	v_fma_f64 v[6:7], s[12:13], v[50:51], v[10:11]
	v_mul_f64 v[116:117], v[16:17], v[116:117]
	v_fmac_f64_e32 v[84:85], v[16:17], v[114:115]
	v_add_f64 v[46:47], v[108:109], v[38:39]
	v_mul_f64 v[12:13], v[120:121], s[10:11]
	v_fma_f64 v[4:5], s[8:9], v[48:49], v[8:9]
	v_add_f64 v[6:7], v[2:3], v[6:7]
	v_fmac_f64_e32 v[80:81], v[20:21], v[106:107]
	v_fma_f64 v[106:107], v[18:19], v[114:115], -v[116:117]
	v_fma_f64 v[14:15], s[6:7], v[46:47], v[12:13]
	v_add_f64 v[4:5], v[4:5], v[6:7]
	v_add_f64 v[132:133], v[84:85], -v[82:83]
	v_add_f64 v[4:5], v[14:15], v[4:5]
	v_mul_f64 v[14:15], v[132:133], s[34:35]
	v_add_f64 v[112:113], v[106:107], v[36:37]
	v_add_f64 v[134:135], v[80:81], -v[78:79]
	v_fma_f64 v[6:7], s[18:19], v[112:113], v[14:15]
	v_mul_f64 v[16:17], v[134:135], s[22:23]
	v_add_f64 v[114:115], v[104:105], v[102:103]
	v_add_f64 v[138:139], v[44:45], -v[42:43]
	v_add_f64 v[4:5], v[6:7], v[4:5]
	v_fma_f64 v[6:7], s[20:21], v[114:115], v[16:17]
	v_add_f64 v[116:117], v[96:97], v[92:93]
	v_mul_f64 v[18:19], v[138:139], s[16:17]
	v_add_f64 v[146:147], v[110:111], -v[40:41]
	v_add_f64 v[4:5], v[6:7], v[4:5]
	v_fma_f64 v[6:7], v[116:117], s[12:13], -v[18:19]
	v_add_f64 v[118:119], v[94:95], v[88:89]
	v_mul_f64 v[20:21], v[146:147], s[14:15]
	v_fma_f64 v[10:11], v[50:51], s[12:13], -v[10:11]
	v_add_f64 v[6:7], v[0:1], v[6:7]
	v_fma_f64 v[22:23], v[118:119], s[8:9], -v[20:21]
	v_add_f64 v[140:141], v[108:109], -v[38:39]
	v_fma_f64 v[8:9], v[48:49], s[8:9], -v[8:9]
	v_add_f64 v[10:11], v[2:3], v[10:11]
	v_add_f64 v[6:7], v[22:23], v[6:7]
	;; [unrolled: 1-line block ×3, first 2 shown]
	v_mul_f64 v[22:23], v[140:141], s[10:11]
	v_add_f64 v[8:9], v[8:9], v[10:11]
	v_fma_f64 v[10:11], v[46:47], s[6:7], -v[12:13]
	v_fma_f64 v[24:25], v[122:123], s[6:7], -v[22:23]
	v_add_f64 v[144:145], v[106:107], -v[36:37]
	v_add_f64 v[8:9], v[10:11], v[8:9]
	v_fma_f64 v[10:11], v[112:113], s[18:19], -v[14:15]
	v_add_f64 v[6:7], v[24:25], v[6:7]
	v_add_f64 v[128:129], v[84:85], v[82:83]
	v_mul_f64 v[24:25], v[144:145], s[34:35]
	v_add_f64 v[8:9], v[10:11], v[8:9]
	v_fma_f64 v[10:11], v[114:115], s[20:21], -v[16:17]
	v_fmac_f64_e32 v[18:19], s[12:13], v[116:117]
	v_fma_f64 v[26:27], v[128:129], s[18:19], -v[24:25]
	v_add_f64 v[148:149], v[104:105], -v[102:103]
	v_add_f64 v[8:9], v[10:11], v[8:9]
	v_fmac_f64_e32 v[20:21], s[8:9], v[118:119]
	v_add_f64 v[10:11], v[0:1], v[18:19]
	v_add_f64 v[6:7], v[26:27], v[6:7]
	;; [unrolled: 1-line block ×3, first 2 shown]
	v_mul_f64 v[26:27], v[148:149], s[22:23]
	v_add_f64 v[150:151], v[74:75], -v[76:77]
	v_add_f64 v[10:11], v[20:21], v[10:11]
	v_fmac_f64_e32 v[22:23], s[6:7], v[122:123]
	v_fma_f64 v[28:29], v[130:131], s[20:21], -v[26:27]
	v_mul_f64 v[30:31], v[150:151], s[28:29]
	v_add_f64 v[142:143], v[98:99], v[100:101]
	v_add_f64 v[152:153], v[98:99], -v[100:101]
	v_add_f64 v[10:11], v[22:23], v[10:11]
	v_fmac_f64_e32 v[24:25], s[18:19], v[128:129]
	v_add_f64 v[28:29], v[28:29], v[6:7]
	v_fma_f64 v[6:7], s[24:25], v[142:143], v[30:31]
	v_add_f64 v[136:137], v[74:75], v[76:77]
	v_mul_f64 v[32:33], v[152:153], s[28:29]
	v_add_f64 v[10:11], v[24:25], v[10:11]
	v_fmac_f64_e32 v[26:27], s[20:21], v[130:131]
	v_add_f64 v[6:7], v[6:7], v[4:5]
	v_fma_f64 v[4:5], v[136:137], s[24:25], -v[32:33]
	v_add_f64 v[12:13], v[26:27], v[10:11]
	v_fma_f64 v[10:11], v[142:143], s[24:25], -v[30:31]
	v_fmac_f64_e32 v[32:33], s[24:25], v[136:137]
	v_mul_f64 v[16:17], v[124:125], s[10:11]
	v_add_f64 v[10:11], v[10:11], v[8:9]
	v_add_f64 v[8:9], v[32:33], v[12:13]
	v_fma_f64 v[12:13], s[6:7], v[50:51], v[16:17]
	v_mul_f64 v[18:19], v[126:127], s[28:29]
	v_add_f64 v[12:13], v[2:3], v[12:13]
	v_fma_f64 v[14:15], s[24:25], v[48:49], v[18:19]
	v_mul_f64 v[20:21], v[120:121], s[26:27]
	;; [unrolled: 3-line block ×5, first 2 shown]
	v_add_f64 v[4:5], v[4:5], v[28:29]
	v_add_f64 v[12:13], v[14:15], v[12:13]
	v_fma_f64 v[14:15], v[116:117], s[6:7], -v[26:27]
	v_mul_f64 v[28:29], v[146:147], s[28:29]
	v_fma_f64 v[16:17], v[50:51], s[6:7], -v[16:17]
	v_add_f64 v[14:15], v[0:1], v[14:15]
	v_fma_f64 v[30:31], v[118:119], s[24:25], -v[28:29]
	v_fma_f64 v[18:19], v[48:49], s[24:25], -v[18:19]
	v_add_f64 v[16:17], v[2:3], v[16:17]
	v_add_f64 v[14:15], v[30:31], v[14:15]
	v_mul_f64 v[30:31], v[140:141], s[26:27]
	v_add_f64 v[16:17], v[18:19], v[16:17]
	v_fma_f64 v[18:19], v[46:47], s[18:19], -v[20:21]
	v_fma_f64 v[32:33], v[122:123], s[18:19], -v[30:31]
	v_add_f64 v[16:17], v[18:19], v[16:17]
	v_fma_f64 v[18:19], v[112:113], s[12:13], -v[22:23]
	v_add_f64 v[14:15], v[32:33], v[14:15]
	v_mul_f64 v[32:33], v[144:145], s[38:39]
	v_add_f64 v[16:17], v[18:19], v[16:17]
	v_fma_f64 v[18:19], v[114:115], s[8:9], -v[24:25]
	v_fmac_f64_e32 v[26:27], s[6:7], v[116:117]
	v_fma_f64 v[34:35], v[128:129], s[12:13], -v[32:33]
	v_add_f64 v[16:17], v[18:19], v[16:17]
	v_fmac_f64_e32 v[28:29], s[24:25], v[118:119]
	v_add_f64 v[18:19], v[0:1], v[26:27]
	v_add_f64 v[14:15], v[34:35], v[14:15]
	v_mul_f64 v[34:35], v[148:149], s[14:15]
	v_add_f64 v[18:19], v[28:29], v[18:19]
	v_fmac_f64_e32 v[30:31], s[18:19], v[122:123]
	v_fma_f64 v[160:161], v[130:131], s[8:9], -v[34:35]
	v_mul_f64 v[162:163], v[150:151], s[22:23]
	v_add_f64 v[18:19], v[30:31], v[18:19]
	v_fmac_f64_e32 v[32:33], s[12:13], v[128:129]
	v_add_f64 v[160:161], v[160:161], v[14:15]
	v_fma_f64 v[14:15], s[20:21], v[142:143], v[162:163]
	v_mul_f64 v[164:165], v[152:153], s[22:23]
	v_add_f64 v[18:19], v[32:33], v[18:19]
	v_fmac_f64_e32 v[34:35], s[8:9], v[130:131]
	v_add_f64 v[14:15], v[14:15], v[12:13]
	v_fma_f64 v[12:13], v[136:137], s[20:21], -v[164:165]
	v_add_f64 v[20:21], v[34:35], v[18:19]
	v_fma_f64 v[18:19], v[142:143], s[20:21], -v[162:163]
	v_fmac_f64_e32 v[164:165], s[20:21], v[136:137]
	v_mul_f64 v[24:25], v[124:125], s[22:23]
	v_add_f64 v[18:19], v[18:19], v[16:17]
	v_add_f64 v[16:17], v[164:165], v[20:21]
	v_fma_f64 v[20:21], s[20:21], v[50:51], v[24:25]
	v_mul_f64 v[26:27], v[126:127], s[36:37]
	v_add_f64 v[20:21], v[2:3], v[20:21]
	v_fma_f64 v[22:23], s[6:7], v[48:49], v[26:27]
	v_mul_f64 v[28:29], v[120:121], s[14:15]
	;; [unrolled: 3-line block ×5, first 2 shown]
	v_add_f64 v[12:13], v[12:13], v[160:161]
	v_add_f64 v[20:21], v[22:23], v[20:21]
	v_fma_f64 v[22:23], v[116:117], s[20:21], -v[34:35]
	v_mul_f64 v[160:161], v[146:147], s[36:37]
	v_fma_f64 v[24:25], v[50:51], s[20:21], -v[24:25]
	v_add_f64 v[22:23], v[0:1], v[22:23]
	v_fma_f64 v[162:163], v[118:119], s[6:7], -v[160:161]
	v_fma_f64 v[26:27], v[48:49], s[6:7], -v[26:27]
	v_add_f64 v[24:25], v[2:3], v[24:25]
	v_add_f64 v[22:23], v[162:163], v[22:23]
	v_mul_f64 v[162:163], v[140:141], s[14:15]
	v_add_f64 v[24:25], v[26:27], v[24:25]
	v_fma_f64 v[26:27], v[46:47], s[8:9], -v[28:29]
	v_fma_f64 v[164:165], v[122:123], s[8:9], -v[162:163]
	v_add_f64 v[24:25], v[26:27], v[24:25]
	v_fma_f64 v[26:27], v[112:113], s[24:25], -v[30:31]
	v_add_f64 v[22:23], v[164:165], v[22:23]
	v_mul_f64 v[164:165], v[144:145], s[30:31]
	v_add_f64 v[24:25], v[26:27], v[24:25]
	v_fma_f64 v[26:27], v[114:115], s[12:13], -v[32:33]
	v_fmac_f64_e32 v[34:35], s[20:21], v[116:117]
	v_fma_f64 v[166:167], v[128:129], s[24:25], -v[164:165]
	v_add_f64 v[24:25], v[26:27], v[24:25]
	v_fmac_f64_e32 v[160:161], s[6:7], v[118:119]
	v_add_f64 v[26:27], v[0:1], v[34:35]
	v_add_f64 v[22:23], v[166:167], v[22:23]
	v_mul_f64 v[166:167], v[148:149], s[38:39]
	v_add_f64 v[26:27], v[160:161], v[26:27]
	v_fmac_f64_e32 v[162:163], s[8:9], v[122:123]
	v_fma_f64 v[168:169], v[130:131], s[12:13], -v[166:167]
	v_mul_f64 v[170:171], v[150:151], s[34:35]
	v_add_f64 v[26:27], v[162:163], v[26:27]
	v_fmac_f64_e32 v[164:165], s[24:25], v[128:129]
	v_add_f64 v[168:169], v[168:169], v[22:23]
	v_fma_f64 v[22:23], s[18:19], v[142:143], v[170:171]
	v_mul_f64 v[172:173], v[152:153], s[34:35]
	v_add_f64 v[26:27], v[164:165], v[26:27]
	v_fmac_f64_e32 v[166:167], s[12:13], v[130:131]
	v_add_f64 v[22:23], v[22:23], v[20:21]
	v_fma_f64 v[20:21], v[136:137], s[18:19], -v[172:173]
	v_add_f64 v[28:29], v[166:167], v[26:27]
	v_fma_f64 v[26:27], v[142:143], s[18:19], -v[170:171]
	v_fmac_f64_e32 v[172:173], s[18:19], v[136:137]
	v_mul_f64 v[32:33], v[124:125], s[30:31]
	v_add_f64 v[26:27], v[26:27], v[24:25]
	v_add_f64 v[24:25], v[172:173], v[28:29]
	v_fma_f64 v[28:29], s[24:25], v[50:51], v[32:33]
	v_mul_f64 v[34:35], v[126:127], s[16:17]
	s_mov_b32 s35, 0x3fedeba7
	s_mov_b32 s34, s22
	v_add_f64 v[28:29], v[2:3], v[28:29]
	v_fma_f64 v[30:31], s[12:13], v[48:49], v[34:35]
	v_mul_f64 v[160:161], v[120:121], s[34:35]
	v_add_f64 v[28:29], v[30:31], v[28:29]
	v_fma_f64 v[30:31], s[20:21], v[46:47], v[160:161]
	v_mul_f64 v[162:163], v[132:133], s[14:15]
	;; [unrolled: 3-line block ×4, first 2 shown]
	v_add_f64 v[20:21], v[20:21], v[168:169]
	v_add_f64 v[28:29], v[30:31], v[28:29]
	v_fma_f64 v[30:31], v[116:117], s[24:25], -v[166:167]
	v_mul_f64 v[168:169], v[146:147], s[16:17]
	v_fma_f64 v[32:33], v[50:51], s[24:25], -v[32:33]
	v_add_f64 v[30:31], v[0:1], v[30:31]
	v_fma_f64 v[170:171], v[118:119], s[12:13], -v[168:169]
	v_fma_f64 v[34:35], v[48:49], s[12:13], -v[34:35]
	v_add_f64 v[32:33], v[2:3], v[32:33]
	v_add_f64 v[30:31], v[170:171], v[30:31]
	v_mul_f64 v[170:171], v[140:141], s[34:35]
	v_add_f64 v[32:33], v[34:35], v[32:33]
	v_fma_f64 v[34:35], v[46:47], s[20:21], -v[160:161]
	v_fma_f64 v[172:173], v[122:123], s[20:21], -v[170:171]
	v_add_f64 v[32:33], v[34:35], v[32:33]
	v_fma_f64 v[34:35], v[112:113], s[8:9], -v[162:163]
	v_add_f64 v[30:31], v[172:173], v[30:31]
	v_mul_f64 v[172:173], v[144:145], s[14:15]
	v_add_f64 v[32:33], v[34:35], v[32:33]
	v_fma_f64 v[34:35], v[114:115], s[18:19], -v[164:165]
	v_fmac_f64_e32 v[166:167], s[24:25], v[116:117]
	v_fma_f64 v[174:175], v[128:129], s[8:9], -v[172:173]
	v_add_f64 v[32:33], v[34:35], v[32:33]
	v_fmac_f64_e32 v[168:169], s[12:13], v[118:119]
	v_add_f64 v[34:35], v[0:1], v[166:167]
	v_add_f64 v[30:31], v[174:175], v[30:31]
	v_mul_f64 v[174:175], v[148:149], s[26:27]
	v_add_f64 v[34:35], v[168:169], v[34:35]
	v_fmac_f64_e32 v[170:171], s[20:21], v[122:123]
	v_fma_f64 v[176:177], v[130:131], s[18:19], -v[174:175]
	v_mul_f64 v[178:179], v[150:151], s[10:11]
	v_add_f64 v[34:35], v[170:171], v[34:35]
	v_fmac_f64_e32 v[172:173], s[8:9], v[128:129]
	v_add_f64 v[176:177], v[176:177], v[30:31]
	v_fma_f64 v[30:31], s[6:7], v[142:143], v[178:179]
	v_mul_f64 v[180:181], v[152:153], s[10:11]
	v_add_f64 v[34:35], v[172:173], v[34:35]
	v_fmac_f64_e32 v[174:175], s[18:19], v[130:131]
	v_add_f64 v[30:31], v[30:31], v[28:29]
	v_fma_f64 v[28:29], v[136:137], s[6:7], -v[180:181]
	v_add_f64 v[160:161], v[174:175], v[34:35]
	v_fma_f64 v[34:35], v[142:143], s[6:7], -v[178:179]
	v_fmac_f64_e32 v[180:181], s[6:7], v[136:137]
	v_mul_f64 v[164:165], v[124:125], s[26:27]
	v_add_f64 v[34:35], v[34:35], v[32:33]
	v_add_f64 v[32:33], v[180:181], v[160:161]
	v_fma_f64 v[160:161], s[18:19], v[50:51], v[164:165]
	v_mul_f64 v[166:167], v[126:127], s[22:23]
	v_add_f64 v[160:161], v[2:3], v[160:161]
	v_fma_f64 v[162:163], s[20:21], v[48:49], v[166:167]
	v_mul_f64 v[168:169], v[120:121], s[16:17]
	;; [unrolled: 3-line block ×5, first 2 shown]
	v_add_f64 v[28:29], v[28:29], v[176:177]
	v_add_f64 v[160:161], v[162:163], v[160:161]
	v_fma_f64 v[162:163], v[116:117], s[18:19], -v[174:175]
	v_mul_f64 v[176:177], v[146:147], s[22:23]
	v_fma_f64 v[164:165], v[50:51], s[18:19], -v[164:165]
	v_add_f64 v[162:163], v[0:1], v[162:163]
	v_fma_f64 v[178:179], v[118:119], s[20:21], -v[176:177]
	v_fma_f64 v[166:167], v[48:49], s[20:21], -v[166:167]
	v_add_f64 v[164:165], v[2:3], v[164:165]
	v_add_f64 v[162:163], v[178:179], v[162:163]
	v_mul_f64 v[178:179], v[140:141], s[16:17]
	v_add_f64 v[164:165], v[166:167], v[164:165]
	v_fma_f64 v[166:167], v[46:47], s[12:13], -v[168:169]
	v_fma_f64 v[180:181], v[122:123], s[12:13], -v[178:179]
	v_add_f64 v[164:165], v[166:167], v[164:165]
	v_fma_f64 v[166:167], v[112:113], s[6:7], -v[170:171]
	v_add_f64 v[162:163], v[180:181], v[162:163]
	v_mul_f64 v[180:181], v[144:145], s[36:37]
	v_add_f64 v[164:165], v[166:167], v[164:165]
	v_fma_f64 v[166:167], v[114:115], s[24:25], -v[172:173]
	v_fmac_f64_e32 v[174:175], s[18:19], v[116:117]
	v_fma_f64 v[182:183], v[128:129], s[6:7], -v[180:181]
	v_add_f64 v[164:165], v[166:167], v[164:165]
	v_fmac_f64_e32 v[176:177], s[20:21], v[118:119]
	v_add_f64 v[166:167], v[0:1], v[174:175]
	v_add_f64 v[162:163], v[182:183], v[162:163]
	v_mul_f64 v[182:183], v[148:149], s[28:29]
	v_add_f64 v[166:167], v[176:177], v[166:167]
	v_fmac_f64_e32 v[178:179], s[12:13], v[122:123]
	v_fma_f64 v[184:185], v[130:131], s[24:25], -v[182:183]
	v_mul_f64 v[186:187], v[150:151], s[14:15]
	v_add_f64 v[166:167], v[178:179], v[166:167]
	v_fmac_f64_e32 v[180:181], s[6:7], v[128:129]
	v_add_f64 v[184:185], v[184:185], v[162:163]
	v_fma_f64 v[162:163], s[8:9], v[142:143], v[186:187]
	v_mul_f64 v[188:189], v[152:153], s[14:15]
	v_add_f64 v[166:167], v[180:181], v[166:167]
	v_fmac_f64_e32 v[182:183], s[24:25], v[130:131]
	s_mov_b32 s15, 0xbfddbe06
	v_add_f64 v[162:163], v[162:163], v[160:161]
	v_fma_f64 v[160:161], v[136:137], s[8:9], -v[188:189]
	v_add_f64 v[168:169], v[182:183], v[166:167]
	v_fma_f64 v[166:167], v[142:143], s[8:9], -v[186:187]
	v_fmac_f64_e32 v[188:189], s[8:9], v[136:137]
	v_mul_f64 v[170:171], v[124:125], s[14:15]
	v_add_f64 v[166:167], v[166:167], v[164:165]
	v_add_f64 v[164:165], v[188:189], v[168:169]
	v_mul_f64 v[168:169], v[126:127], s[26:27]
	v_fma_f64 v[124:125], s[8:9], v[50:51], v[170:171]
	v_add_f64 v[124:125], v[2:3], v[124:125]
	v_fma_f64 v[126:127], s[18:19], v[48:49], v[168:169]
	v_mul_f64 v[120:121], v[120:121], s[30:31]
	v_add_f64 v[124:125], v[126:127], v[124:125]
	v_fma_f64 v[126:127], s[24:25], v[46:47], v[120:121]
	v_mul_f64 v[132:133], v[132:133], s[22:23]
	;; [unrolled: 3-line block ×3, first 2 shown]
	v_fma_f64 v[50:51], v[50:51], s[8:9], -v[170:171]
	v_add_f64 v[124:125], v[126:127], v[124:125]
	v_fma_f64 v[126:127], s[6:7], v[114:115], v[134:135]
	v_mul_f64 v[138:139], v[138:139], s[14:15]
	v_fma_f64 v[48:49], v[48:49], s[18:19], -v[168:169]
	v_add_f64 v[50:51], v[2:3], v[50:51]
	v_add_f64 v[124:125], v[126:127], v[124:125]
	v_fma_f64 v[126:127], v[116:117], s[8:9], -v[138:139]
	v_fma_f64 v[46:47], v[46:47], s[24:25], -v[120:121]
	v_add_f64 v[48:49], v[48:49], v[50:51]
	v_fmac_f64_e32 v[138:139], s[8:9], v[116:117]
	v_add_f64 v[2:3], v[2:3], v[44:45]
	v_add_f64 v[126:127], v[0:1], v[126:127]
	;; [unrolled: 1-line block ×14, first 2 shown]
	v_mul_f64 v[146:147], v[146:147], s[26:27]
	v_add_f64 v[2:3], v[2:3], v[100:101]
	v_add_f64 v[0:1], v[0:1], v[74:75]
	v_fma_f64 v[172:173], v[118:119], s[18:19], -v[146:147]
	v_mul_f64 v[140:141], v[140:141], s[30:31]
	v_add_f64 v[2:3], v[2:3], v[102:103]
	v_add_f64 v[0:1], v[0:1], v[76:77]
	;; [unrolled: 1-line block ×3, first 2 shown]
	v_fma_f64 v[172:173], v[122:123], s[24:25], -v[140:141]
	v_mul_f64 v[144:145], v[144:145], s[22:23]
	v_fmac_f64_e32 v[146:147], s[18:19], v[118:119]
	v_add_f64 v[2:3], v[2:3], v[36:37]
	v_add_f64 v[0:1], v[0:1], v[78:79]
	v_lshrrev_b32_e32 v36, 2, v52
	v_add_f64 v[126:127], v[172:173], v[126:127]
	v_fma_f64 v[172:173], v[128:129], s[20:21], -v[144:145]
	v_mul_f64 v[148:149], v[148:149], s[10:11]
	v_fmac_f64_e32 v[140:141], s[24:25], v[122:123]
	v_add_f64 v[48:49], v[146:147], v[48:49]
	v_add_f64 v[0:1], v[0:1], v[82:83]
	v_mul_u32_u24_e32 v36, 52, v36
	v_add_f64 v[126:127], v[172:173], v[126:127]
	v_fma_f64 v[172:173], v[130:131], s[6:7], -v[148:149]
	v_mul_f64 v[150:151], v[150:151], s[16:17]
	v_fma_f64 v[112:113], v[112:113], s[20:21], -v[132:133]
	v_fmac_f64_e32 v[144:145], s[20:21], v[128:129]
	v_add_f64 v[48:49], v[140:141], v[48:49]
	v_add_f64 v[2:3], v[2:3], v[38:39]
	v_add_f64 v[0:1], v[0:1], v[86:87]
	v_or_b32_e32 v36, v36, v67
	v_add_f64 v[172:173], v[172:173], v[126:127]
	v_fma_f64 v[126:127], s[12:13], v[142:143], v[150:151]
	v_mul_f64 v[152:153], v[152:153], s[16:17]
	v_fma_f64 v[114:115], v[114:115], s[6:7], -v[134:135]
	v_add_f64 v[46:47], v[112:113], v[46:47]
	v_fmac_f64_e32 v[148:149], s[6:7], v[130:131]
	v_add_f64 v[48:49], v[144:145], v[48:49]
	v_add_f64 v[2:3], v[2:3], v[40:41]
	;; [unrolled: 1-line block ×3, first 2 shown]
	v_lshlrev_b32_e32 v36, 4, v36
	v_add_f64 v[126:127], v[126:127], v[124:125]
	v_fma_f64 v[124:125], v[136:137], s[12:13], -v[152:153]
	v_fma_f64 v[142:143], v[142:143], s[12:13], -v[150:151]
	v_add_f64 v[46:47], v[114:115], v[46:47]
	v_fmac_f64_e32 v[152:153], s[12:13], v[136:137]
	v_add_f64 v[50:51], v[148:149], v[48:49]
	v_add_f64 v[2:3], v[2:3], v[42:43]
	;; [unrolled: 1-line block ×3, first 2 shown]
	v_add3_u32 v36, 0, v36, v65
	v_add_f64 v[160:161], v[160:161], v[184:185]
	v_add_f64 v[124:125], v[124:125], v[172:173]
	;; [unrolled: 1-line block ×4, first 2 shown]
	ds_write_b128 v36, v[0:3]
	ds_write_b128 v36, v[46:49] offset:64
	ds_write_b128 v36, v[164:167] offset:128
	;; [unrolled: 1-line block ×12, first 2 shown]
.LBB0_16:
	s_or_b64 exec, exec, s[2:3]
	s_movk_i32 s2, 0x4f
	v_mul_lo_u16_sdwa v4, v56, s2 dst_sel:DWORD dst_unused:UNUSED_PAD src0_sel:BYTE_0 src1_sel:DWORD
	v_subrev_u32_e32 v0, 52, v52
	v_cmp_gt_u32_e32 vcc, 52, v52
	v_lshrrev_b16_e32 v5, 12, v4
	v_mov_b32_e32 v3, 0
	v_cndmask_b32_e32 v2, v0, v52, vcc
	v_mul_lo_u16_e32 v4, 52, v5
	v_mul_lo_u16_sdwa v69, v64, s2 dst_sel:DWORD dst_unused:UNUSED_PAD src0_sel:BYTE_0 src1_sel:DWORD
	v_lshl_add_u64 v[0:1], v[2:3], 4, s[4:5]
	v_sub_u16_e32 v6, v56, v4
	v_mov_b32_e32 v4, 4
	v_lshrrev_b16_e32 v71, 12, v69
	s_movk_i32 s2, 0x4ec5
	s_waitcnt lgkmcnt(0)
	s_barrier
	v_lshlrev_b32_sdwa v67, v4, v6 dst_sel:DWORD dst_unused:UNUSED_PAD src0_sel:DWORD src1_sel:BYTE_0
	global_load_dwordx4 v[6:9], v[0:1], off offset:800
	global_load_dwordx4 v[10:13], v67, s[4:5] offset:800
	v_mul_lo_u16_e32 v0, 52, v71
	v_mul_u32_u24_sdwa v106, v62, s2 dst_sel:DWORD dst_unused:UNUSED_PAD src0_sel:WORD_0 src1_sel:DWORD
	v_sub_u16_e32 v0, v64, v0
	v_lshrrev_b32_e32 v107, 20, v106
	v_lshlrev_b32_sdwa v73, v4, v0 dst_sel:DWORD dst_unused:UNUSED_PAD src0_sel:DWORD src1_sel:BYTE_0
	v_mul_lo_u16_e32 v0, 52, v107
	v_sub_u16_e32 v0, v62, v0
	v_lshlrev_b32_e32 v108, 4, v0
	v_mul_u32_u24_sdwa v0, v58, s2 dst_sel:DWORD dst_unused:UNUSED_PAD src0_sel:WORD_0 src1_sel:DWORD
	v_lshrrev_b32_e32 v109, 20, v0
	v_mul_lo_u16_e32 v0, 52, v109
	v_sub_u16_e32 v0, v58, v0
	v_lshlrev_b32_e32 v110, 4, v0
	v_mul_u32_u24_sdwa v0, v59, s2 dst_sel:DWORD dst_unused:UNUSED_PAD src0_sel:WORD_0 src1_sel:DWORD
	v_lshrrev_b32_e32 v111, 20, v0
	v_mul_lo_u16_e32 v0, 52, v111
	v_sub_u16_e32 v0, v59, v0
	v_lshlrev_b32_e32 v59, 4, v0
	global_load_dwordx4 v[14:17], v73, s[4:5] offset:800
	global_load_dwordx4 v[18:21], v108, s[4:5] offset:800
	;; [unrolled: 1-line block ×4, first 2 shown]
	ds_read_b128 v[30:33], v154
	ds_read_b128 v[34:37], v57 offset:7488
	ds_read_b128 v[38:41], v57 offset:8736
	;; [unrolled: 1-line block ×3, first 2 shown]
	ds_read_b128 v[46:49], v63
	ds_read_b128 v[74:77], v156
	ds_read_b128 v[78:81], v57 offset:11232
	ds_read_b128 v[82:85], v57 offset:12480
	ds_read_b128 v[86:89], v157
	ds_read_b128 v[90:93], v158
	;; [unrolled: 1-line block ×3, first 2 shown]
	ds_read_b128 v[98:101], v57 offset:13728
	v_cmp_lt_u32_e32 vcc, 51, v52
	s_movk_i32 s2, 0x680
	s_waitcnt lgkmcnt(0)
	s_barrier
	s_mov_b32 s3, 0x5040100
	s_mov_b32 s7, 0x3febb67a
	s_movk_i32 s8, 0x1380
	s_movk_i32 s10, 0x1000
	s_waitcnt vmcnt(5)
	v_mul_f64 v[0:1], v[36:37], v[8:9]
	v_mul_f64 v[8:9], v[34:35], v[8:9]
	v_fmac_f64_e32 v[0:1], v[34:35], v[6:7]
	v_fma_f64 v[8:9], v[36:37], v[6:7], -v[8:9]
	v_add_f64 v[6:7], v[30:31], -v[0:1]
	s_waitcnt vmcnt(4)
	v_mul_f64 v[0:1], v[40:41], v[12:13]
	v_mul_f64 v[12:13], v[38:39], v[12:13]
	v_fmac_f64_e32 v[0:1], v[38:39], v[10:11]
	v_fma_f64 v[12:13], v[40:41], v[10:11], -v[12:13]
	v_add_f64 v[10:11], v[94:95], -v[0:1]
	v_mov_b32_e32 v0, 0x680
	v_cndmask_b32_e32 v0, 0, v0, vcc
	v_add_f64 v[8:9], v[32:33], -v[8:9]
	v_add_u32_e32 v0, 0, v0
	v_lshlrev_b32_e32 v1, 4, v2
	v_add3_u32 v0, v0, v1, v65
	v_add_f64 v[12:13], v[96:97], -v[12:13]
	v_subrev_u32_e32 v2, 26, v52
	v_cmp_gt_u32_e32 vcc, 26, v52
	s_waitcnt vmcnt(3)
	v_mul_f64 v[34:35], v[44:45], v[16:17]
	v_mul_f64 v[16:17], v[42:43], v[16:17]
	s_waitcnt vmcnt(2)
	v_mul_f64 v[36:37], v[80:81], v[20:21]
	s_waitcnt vmcnt(0)
	v_mul_f64 v[102:103], v[100:101], v[28:29]
	v_mul_f64 v[104:105], v[98:99], v[28:29]
	v_fma_f64 v[28:29], v[30:31], 2.0, -v[6:7]
	v_fma_f64 v[30:31], v[32:33], 2.0, -v[8:9]
	v_mul_f64 v[20:21], v[78:79], v[20:21]
	ds_write_b128 v0, v[28:31]
	ds_write_b128 v0, v[6:9] offset:832
	v_mad_u32_u24 v0, v5, s2, 0
	v_fmac_f64_e32 v[34:35], v[42:43], v[14:15]
	v_fma_f64 v[16:17], v[44:45], v[14:15], -v[16:17]
	v_fmac_f64_e32 v[36:37], v[78:79], v[18:19]
	v_fma_f64 v[38:39], v[80:81], v[18:19], -v[20:21]
	v_fma_f64 v[18:19], v[94:95], 2.0, -v[10:11]
	v_fma_f64 v[20:21], v[96:97], 2.0, -v[12:13]
	v_add3_u32 v0, v0, v67, v65
	v_mul_f64 v[50:51], v[84:85], v[24:25]
	v_mul_f64 v[24:25], v[82:83], v[24:25]
	v_add_f64 v[14:15], v[46:47], -v[34:35]
	v_add_f64 v[16:17], v[48:49], -v[16:17]
	ds_write_b128 v0, v[18:21]
	ds_write_b128 v0, v[10:13] offset:832
	v_mad_u32_u24 v0, v71, s2, 0
	v_fmac_f64_e32 v[50:51], v[82:83], v[22:23]
	v_fma_f64 v[42:43], v[84:85], v[22:23], -v[24:25]
	v_fma_f64 v[22:23], v[46:47], 2.0, -v[14:15]
	v_fma_f64 v[24:25], v[48:49], 2.0, -v[16:17]
	v_add3_u32 v0, v0, v73, v65
	v_add_f64 v[32:33], v[74:75], -v[36:37]
	v_add_f64 v[34:35], v[76:77], -v[38:39]
	ds_write_b128 v0, v[22:25]
	ds_write_b128 v0, v[14:17] offset:832
	v_mad_u32_u24 v0, v107, s2, 0
	v_fma_f64 v[36:37], v[74:75], 2.0, -v[32:33]
	v_fma_f64 v[38:39], v[76:77], 2.0, -v[34:35]
	v_add3_u32 v0, v0, v108, v65
	ds_write_b128 v0, v[36:39]
	ds_write_b128 v0, v[32:35] offset:832
	v_perm_b32 v0, v111, v109, s3
	v_pk_mul_lo_u16 v0, v0, s2 op_sel_hi:[1,0]
	v_fmac_f64_e32 v[102:103], v[98:99], v[26:27]
	v_fma_f64 v[26:27], v[100:101], v[26:27], -v[104:105]
	v_and_b32_e32 v1, 0xff80, v0
	v_add_f64 v[40:41], v[86:87], -v[50:51]
	v_add_f64 v[42:43], v[88:89], -v[42:43]
	;; [unrolled: 1-line block ×4, first 2 shown]
	v_add_u32_e32 v1, 0, v1
	v_add_u32_sdwa v0, v3, v0 dst_sel:DWORD dst_unused:UNUSED_PAD src0_sel:DWORD src1_sel:WORD_1
	v_cndmask_b32_e32 v5, v2, v56, vcc
	v_fma_f64 v[44:45], v[86:87], 2.0, -v[40:41]
	v_fma_f64 v[46:47], v[88:89], 2.0, -v[42:43]
	;; [unrolled: 1-line block ×4, first 2 shown]
	v_add3_u32 v1, v1, v110, v65
	v_add3_u32 v0, v0, v59, v65
	v_mov_b32_e32 v73, v3
	v_lshlrev_b32_e32 v2, 1, v5
	ds_write_b128 v1, v[44:47]
	ds_write_b128 v1, v[40:43] offset:832
	ds_write_b128 v0, v[74:77]
	ds_write_b128 v0, v[48:51] offset:832
	v_lshl_add_u64 v[0:1], v[72:73], 4, s[4:5]
	v_lshl_add_u64 v[22:23], v[2:3], 4, s[4:5]
	v_lshrrev_b16_e32 v2, 13, v69
	s_waitcnt lgkmcnt(0)
	s_barrier
	global_load_dwordx4 v[6:9], v[0:1], off offset:1632
	global_load_dwordx4 v[10:13], v[0:1], off offset:1648
	;; [unrolled: 1-line block ×4, first 2 shown]
	v_mul_lo_u16_e32 v22, 0x68, v2
	v_sub_u16_e32 v59, v64, v22
	v_mov_b32_e32 v22, 5
	v_lshlrev_b32_sdwa v30, v22, v59 dst_sel:DWORD dst_unused:UNUSED_PAD src0_sel:DWORD src1_sel:BYTE_0
	global_load_dwordx4 v[22:25], v30, s[4:5] offset:1632
	global_load_dwordx4 v[26:29], v30, s[4:5] offset:1648
	v_lshrrev_b32_e32 v30, 21, v106
	v_mul_lo_u16_e32 v30, 0x68, v30
	v_sub_u16_e32 v67, v62, v30
	v_lshlrev_b32_e32 v38, 5, v67
	global_load_dwordx4 v[30:33], v38, s[4:5] offset:1632
	global_load_dwordx4 v[34:37], v38, s[4:5] offset:1648
	ds_read_b128 v[38:41], v157
	ds_read_b128 v[42:45], v158
	;; [unrolled: 1-line block ×3, first 2 shown]
	ds_read_b128 v[72:75], v57 offset:7488
	ds_read_b128 v[76:79], v57 offset:11232
	;; [unrolled: 1-line block ×3, first 2 shown]
	ds_read_b128 v[84:87], v63
	ds_read_b128 v[88:91], v156
	ds_read_b128 v[92:95], v57 offset:9984
	ds_read_b128 v[96:99], v57 offset:8736
	ds_read_b128 v[100:103], v61
	ds_read_b128 v[104:107], v57 offset:13728
	s_mov_b32 s2, 0xe8584caa
	s_mov_b32 s3, 0xbfebb67a
	;; [unrolled: 1-line block ×3, first 2 shown]
	s_waitcnt lgkmcnt(0)
	s_barrier
	v_cmp_lt_u32_e32 vcc, 25, v52
	v_lshlrev_b32_e32 v5, 4, v5
	v_mad_u32_u24 v2, v2, s8, 0
	v_lshlrev_b32_sdwa v4, v4, v59 dst_sel:DWORD dst_unused:UNUSED_PAD src0_sel:DWORD src1_sel:BYTE_0
	v_add3_u32 v2, v2, v4, v65
	s_mov_b64 s[8:9], 0x1360
	v_mov_b32_e32 v71, v3
	v_mov_b32_e32 v69, v3
	s_waitcnt vmcnt(7)
	v_mul_f64 v[50:51], v[40:41], v[8:9]
	v_mul_f64 v[8:9], v[38:39], v[8:9]
	v_fmac_f64_e32 v[50:51], v[38:39], v[6:7]
	v_fma_f64 v[38:39], v[40:41], v[6:7], -v[8:9]
	s_waitcnt vmcnt(6)
	v_mul_f64 v[40:41], v[94:95], v[12:13]
	v_mul_f64 v[6:7], v[92:93], v[12:13]
	v_fmac_f64_e32 v[40:41], v[92:93], v[10:11]
	v_fma_f64 v[12:13], v[94:95], v[10:11], -v[6:7]
	;; [unrolled: 5-line block ×5, first 2 shown]
	s_waitcnt vmcnt(2)
	v_mul_f64 v[6:7], v[80:81], v[28:29]
	v_mul_f64 v[74:75], v[82:83], v[28:29]
	v_fma_f64 v[28:29], v[82:83], v[26:27], -v[6:7]
	s_waitcnt vmcnt(1)
	v_mul_f64 v[6:7], v[96:97], v[32:33]
	v_fmac_f64_e32 v[74:75], v[80:81], v[26:27]
	v_fma_f64 v[80:81], v[98:99], v[30:31], -v[6:7]
	s_waitcnt vmcnt(0)
	v_mul_f64 v[6:7], v[104:105], v[36:37]
	v_add_f64 v[8:9], v[50:51], v[40:41]
	v_mul_f64 v[82:83], v[106:107], v[36:37]
	v_fma_f64 v[36:37], v[106:107], v[34:35], -v[6:7]
	v_add_f64 v[6:7], v[46:47], v[50:51]
	v_fmac_f64_e32 v[46:47], -0.5, v[8:9]
	v_add_f64 v[8:9], v[38:39], -v[12:13]
	v_fma_f64 v[10:11], s[2:3], v[8:9], v[46:47]
	v_fmac_f64_e32 v[46:47], s[6:7], v[8:9]
	v_add_f64 v[8:9], v[48:49], v[38:39]
	v_add_f64 v[8:9], v[8:9], v[12:13]
	;; [unrolled: 1-line block ×3, first 2 shown]
	v_fmac_f64_e32 v[48:49], -0.5, v[12:13]
	v_add_f64 v[14:15], v[50:51], -v[40:41]
	v_add_f64 v[16:17], v[92:93], v[44:45]
	v_fma_f64 v[12:13], s[6:7], v[14:15], v[48:49]
	v_fmac_f64_e32 v[48:49], s[2:3], v[14:15]
	v_add_f64 v[14:15], v[100:101], v[92:93]
	v_fmac_f64_e32 v[100:101], -0.5, v[16:17]
	v_add_f64 v[16:17], v[42:43], -v[20:21]
	v_fma_f64 v[18:19], s[2:3], v[16:17], v[100:101]
	v_fmac_f64_e32 v[100:101], s[6:7], v[16:17]
	v_add_f64 v[16:17], v[102:103], v[42:43]
	v_add_f64 v[16:17], v[16:17], v[20:21]
	;; [unrolled: 1-line block ×3, first 2 shown]
	v_fmac_f64_e32 v[102:103], -0.5, v[20:21]
	v_add_f64 v[22:23], v[92:93], -v[44:45]
	v_add_f64 v[24:25], v[76:77], v[74:75]
	v_fma_f64 v[20:21], s[6:7], v[22:23], v[102:103]
	v_fmac_f64_e32 v[102:103], s[2:3], v[22:23]
	v_add_f64 v[22:23], v[84:85], v[76:77]
	v_fmac_f64_e32 v[84:85], -0.5, v[24:25]
	v_add_f64 v[24:25], v[72:73], -v[28:29]
	v_mul_f64 v[78:79], v[98:99], v[32:33]
	v_add_f64 v[6:7], v[6:7], v[40:41]
	v_fma_f64 v[26:27], s[2:3], v[24:25], v[84:85]
	v_fmac_f64_e32 v[84:85], s[6:7], v[24:25]
	v_add_f64 v[24:25], v[86:87], v[72:73]
	v_fmac_f64_e32 v[78:79], v[96:97], v[30:31]
	v_fmac_f64_e32 v[82:83], v[104:105], v[34:35]
	v_add_f64 v[24:25], v[24:25], v[28:29]
	v_add_f64 v[28:29], v[72:73], v[28:29]
	ds_write_b128 v57, v[6:9]
	ds_write_b128 v57, v[10:13] offset:1664
	ds_write_b128 v57, v[46:49] offset:3328
	v_mov_b32_e32 v6, 0x1380
	v_fmac_f64_e32 v[86:87], -0.5, v[28:29]
	v_add_f64 v[30:31], v[76:77], -v[74:75]
	v_add_f64 v[32:33], v[78:79], v[82:83]
	v_cndmask_b32_e32 v6, 0, v6, vcc
	v_fma_f64 v[28:29], s[6:7], v[30:31], v[86:87]
	v_fmac_f64_e32 v[86:87], s[2:3], v[30:31]
	v_add_f64 v[30:31], v[88:89], v[78:79]
	v_fmac_f64_e32 v[88:89], -0.5, v[32:33]
	v_add_f64 v[32:33], v[80:81], -v[36:37]
	v_add_u32_e32 v6, 0, v6
	v_add_f64 v[14:15], v[14:15], v[44:45]
	v_add_f64 v[22:23], v[22:23], v[74:75]
	v_fma_f64 v[34:35], s[2:3], v[32:33], v[88:89]
	v_fmac_f64_e32 v[88:89], s[6:7], v[32:33]
	v_add_f64 v[32:33], v[90:91], v[80:81]
	v_add3_u32 v5, v6, v5, v65
	v_add_f64 v[32:33], v[32:33], v[36:37]
	v_add_f64 v[36:37], v[80:81], v[36:37]
	ds_write_b128 v5, v[14:17]
	ds_write_b128 v5, v[18:21] offset:1664
	ds_write_b128 v5, v[100:103] offset:3328
	ds_write_b128 v2, v[22:25]
	ds_write_b128 v2, v[26:29] offset:1664
	ds_write_b128 v2, v[84:87] offset:3328
	v_lshlrev_b32_e32 v2, 4, v67
	v_lshl_add_u64 v[12:13], v[0:1], 0, s[8:9]
	v_add_co_u32_e32 v0, vcc, s10, v0
	v_add_f64 v[30:31], v[30:31], v[82:83]
	v_fmac_f64_e32 v[90:91], -0.5, v[36:37]
	v_add_f64 v[38:39], v[78:79], -v[82:83]
	v_add3_u32 v2, 0, v2, v65
	v_addc_co_u32_e32 v1, vcc, 0, v1, vcc
	v_fma_f64 v[36:37], s[6:7], v[38:39], v[90:91]
	v_fmac_f64_e32 v[90:91], s[2:3], v[38:39]
	ds_write_b128 v2, v[30:33] offset:9984
	ds_write_b128 v2, v[34:37] offset:11648
	;; [unrolled: 1-line block ×3, first 2 shown]
	s_waitcnt lgkmcnt(0)
	s_barrier
	global_load_dwordx4 v[4:7], v[0:1], off offset:864
	global_load_dwordx4 v[8:11], v[12:13], off offset:16
	v_lshl_add_u64 v[0:1], v[70:71], 4, s[4:5]
	v_lshl_add_u64 v[20:21], v[0:1], 0, s[8:9]
	v_add_co_u32_e32 v0, vcc, s10, v0
	v_mov_b32_e32 v67, v3
	s_nop 0
	v_addc_co_u32_e32 v1, vcc, 0, v1, vcc
	global_load_dwordx4 v[12:15], v[0:1], off offset:864
	global_load_dwordx4 v[16:19], v[20:21], off offset:16
	v_lshl_add_u64 v[0:1], v[68:69], 4, s[4:5]
	v_lshl_add_u64 v[28:29], v[0:1], 0, s[8:9]
	v_add_co_u32_e32 v0, vcc, s10, v0
	s_nop 1
	v_addc_co_u32_e32 v1, vcc, 0, v1, vcc
	global_load_dwordx4 v[20:23], v[0:1], off offset:864
	global_load_dwordx4 v[24:27], v[28:29], off offset:16
	v_lshl_add_u64 v[0:1], v[66:67], 4, s[4:5]
	v_add_co_u32_e32 v28, vcc, s10, v0
	s_nop 1
	v_addc_co_u32_e32 v29, vcc, 0, v1, vcc
	global_load_dwordx4 v[28:31], v[28:29], off offset:864
	v_lshl_add_u64 v[0:1], v[0:1], 0, s[8:9]
	global_load_dwordx4 v[32:35], v[0:1], off offset:16
	ds_read_b128 v[36:39], v157
	ds_read_b128 v[40:43], v158
	;; [unrolled: 1-line block ×3, first 2 shown]
	ds_read_b128 v[48:51], v57 offset:7488
	ds_read_b128 v[66:69], v57 offset:11232
	;; [unrolled: 1-line block ×3, first 2 shown]
	ds_read_b128 v[74:77], v63
	ds_read_b128 v[78:81], v156
	ds_read_b128 v[82:85], v57 offset:9984
	ds_read_b128 v[86:89], v57 offset:8736
	ds_read_b128 v[90:93], v61
	ds_read_b128 v[94:97], v57 offset:13728
	s_waitcnt lgkmcnt(0)
	s_barrier
	v_cmp_ne_u32_e32 vcc, 0, v52
	s_waitcnt vmcnt(7)
	v_mul_f64 v[0:1], v[38:39], v[6:7]
	v_mul_f64 v[6:7], v[36:37], v[6:7]
	v_fmac_f64_e32 v[0:1], v[36:37], v[4:5]
	v_fma_f64 v[36:37], v[38:39], v[4:5], -v[6:7]
	s_waitcnt vmcnt(6)
	v_mul_f64 v[38:39], v[84:85], v[10:11]
	v_mul_f64 v[4:5], v[82:83], v[10:11]
	v_fmac_f64_e32 v[38:39], v[82:83], v[8:9]
	v_fma_f64 v[10:11], v[84:85], v[8:9], -v[4:5]
	;; [unrolled: 5-line block ×5, first 2 shown]
	s_waitcnt vmcnt(2)
	v_mul_f64 v[4:5], v[70:71], v[26:27]
	v_mul_f64 v[50:51], v[72:73], v[26:27]
	v_fma_f64 v[26:27], v[72:73], v[24:25], -v[4:5]
	v_fmac_f64_e32 v[50:51], v[70:71], v[24:25]
	s_waitcnt vmcnt(1)
	v_mul_f64 v[4:5], v[86:87], v[30:31]
	v_fma_f64 v[70:71], v[88:89], v[28:29], -v[4:5]
	s_waitcnt vmcnt(0)
	v_mul_f64 v[4:5], v[94:95], v[34:35]
	v_add_f64 v[6:7], v[0:1], v[38:39]
	v_mul_f64 v[72:73], v[96:97], v[34:35]
	v_fma_f64 v[34:35], v[96:97], v[32:33], -v[4:5]
	v_add_f64 v[4:5], v[44:45], v[0:1]
	v_fmac_f64_e32 v[44:45], -0.5, v[6:7]
	v_add_f64 v[6:7], v[36:37], -v[10:11]
	v_fma_f64 v[8:9], s[2:3], v[6:7], v[44:45]
	v_fmac_f64_e32 v[44:45], s[6:7], v[6:7]
	v_add_f64 v[6:7], v[46:47], v[36:37]
	v_add_f64 v[6:7], v[6:7], v[10:11]
	v_add_f64 v[10:11], v[36:37], v[10:11]
	v_fmac_f64_e32 v[46:47], -0.5, v[10:11]
	v_add_f64 v[0:1], v[0:1], -v[38:39]
	v_fma_f64 v[10:11], s[6:7], v[0:1], v[46:47]
	v_fmac_f64_e32 v[46:47], s[2:3], v[0:1]
	v_add_f64 v[0:1], v[90:91], v[82:83]
	v_add_f64 v[12:13], v[0:1], v[42:43]
	;; [unrolled: 7-line block ×4, first 2 shown]
	v_add_f64 v[0:1], v[66:67], v[50:51]
	v_fmac_f64_e32 v[74:75], -0.5, v[0:1]
	v_add_f64 v[0:1], v[48:49], -v[26:27]
	v_fma_f64 v[24:25], s[2:3], v[0:1], v[74:75]
	v_fmac_f64_e32 v[74:75], s[6:7], v[0:1]
	v_add_f64 v[0:1], v[76:77], v[48:49]
	v_mul_f64 v[68:69], v[88:89], v[30:31]
	v_add_f64 v[22:23], v[0:1], v[26:27]
	v_add_f64 v[0:1], v[48:49], v[26:27]
	v_fmac_f64_e32 v[68:69], v[86:87], v[28:29]
	v_fmac_f64_e32 v[76:77], -0.5, v[0:1]
	v_add_f64 v[0:1], v[66:67], -v[50:51]
	v_fmac_f64_e32 v[72:73], v[94:95], v[32:33]
	v_fma_f64 v[26:27], s[6:7], v[0:1], v[76:77]
	v_fmac_f64_e32 v[76:77], s[2:3], v[0:1]
	v_add_f64 v[0:1], v[78:79], v[68:69]
	v_add_f64 v[28:29], v[0:1], v[72:73]
	;; [unrolled: 1-line block ×3, first 2 shown]
	v_fmac_f64_e32 v[78:79], -0.5, v[0:1]
	v_add_f64 v[0:1], v[70:71], -v[34:35]
	v_fma_f64 v[32:33], s[2:3], v[0:1], v[78:79]
	v_fmac_f64_e32 v[78:79], s[6:7], v[0:1]
	v_add_f64 v[0:1], v[80:81], v[70:71]
	v_add_f64 v[30:31], v[0:1], v[34:35]
	;; [unrolled: 1-line block ×4, first 2 shown]
	v_fmac_f64_e32 v[80:81], -0.5, v[0:1]
	v_add_f64 v[0:1], v[68:69], -v[72:73]
	v_fma_f64 v[34:35], s[6:7], v[0:1], v[80:81]
	v_fmac_f64_e32 v[80:81], s[2:3], v[0:1]
	ds_write_b128 v57, v[4:7]
	ds_write_b128 v57, v[8:11] offset:4992
	ds_write_b128 v57, v[44:47] offset:9984
	ds_write_b128 v61, v[12:15]
	ds_write_b128 v61, v[16:19] offset:4992
	ds_write_b128 v61, v[90:93] offset:9984
	;; [unrolled: 3-line block ×4, first 2 shown]
	s_waitcnt lgkmcnt(0)
	s_barrier
	ds_read_b128 v[4:7], v154
	s_add_u32 s2, s4, 0x3a60
	s_addc_u32 s3, s5, 0
	v_sub_u32_e32 v12, v155, v53
                                        ; implicit-def: $vgpr0_vgpr1
                                        ; implicit-def: $vgpr8_vgpr9
                                        ; implicit-def: $vgpr10_vgpr11
	s_and_saveexec_b64 s[4:5], vcc
	s_xor_b64 s[4:5], exec, s[4:5]
	s_cbranch_execz .LBB0_18
; %bb.17:
	v_mov_b32_e32 v53, v3
	v_lshl_add_u64 v[0:1], v[52:53], 4, s[2:3]
	global_load_dwordx4 v[14:17], v[0:1], off
	ds_read_b128 v[0:3], v12 offset:14976
	s_waitcnt lgkmcnt(0)
	v_add_f64 v[18:19], v[4:5], v[0:1]
	v_add_f64 v[0:1], v[4:5], -v[0:1]
	v_add_f64 v[8:9], v[6:7], v[2:3]
	v_add_f64 v[2:3], v[6:7], -v[2:3]
	v_mul_f64 v[6:7], v[0:1], 0.5
	v_mul_f64 v[4:5], v[8:9], 0.5
	;; [unrolled: 1-line block ×3, first 2 shown]
	s_waitcnt vmcnt(0)
	v_mul_f64 v[2:3], v[6:7], v[16:17]
	v_fma_f64 v[10:11], v[4:5], v[16:17], v[0:1]
	v_fma_f64 v[16:17], v[4:5], v[16:17], -v[0:1]
	v_fma_f64 v[8:9], 0.5, v[18:19], v[2:3]
	v_fma_f64 v[0:1], v[18:19], 0.5, -v[2:3]
	v_fma_f64 v[10:11], -v[14:15], v[6:7], v[10:11]
	v_fmac_f64_e32 v[8:9], v[4:5], v[14:15]
	v_fma_f64 v[0:1], -v[4:5], v[14:15], v[0:1]
	v_fma_f64 v[2:3], -v[14:15], v[6:7], v[16:17]
                                        ; implicit-def: $vgpr4_vgpr5
.LBB0_18:
	s_andn2_saveexec_b64 s[4:5], s[4:5]
	s_cbranch_execz .LBB0_20
; %bb.19:
	ds_read_b64 v[2:3], v155 offset:7496
	v_mov_b64_e32 v[10:11], 0
	s_waitcnt lgkmcnt(1)
	v_add_f64 v[8:9], v[4:5], v[6:7]
	v_add_f64 v[0:1], v[4:5], -v[6:7]
	s_waitcnt lgkmcnt(0)
	v_xor_b32_e32 v3, 0x80000000, v3
	ds_write_b64 v155, v[2:3] offset:7496
	v_mov_b64_e32 v[2:3], v[10:11]
.LBB0_20:
	s_or_b64 exec, exec, s[4:5]
	v_mov_b32_e32 v57, 0
	s_waitcnt lgkmcnt(0)
	v_lshl_add_u64 v[4:5], v[56:57], 4, s[2:3]
	global_load_dwordx4 v[4:7], v[4:5], off
	v_mov_b32_e32 v65, v57
	v_lshl_add_u64 v[14:15], v[64:65], 4, s[2:3]
	global_load_dwordx4 v[14:17], v[14:15], off
	v_mov_b32_e32 v63, v57
	;; [unrolled: 3-line block ×3, first 2 shown]
	ds_write2_b64 v154, v[8:9], v[10:11] offset1:1
	ds_write_b128 v12, v[0:3] offset:14976
	v_lshl_add_u32 v13, v56, 4, v155
	v_lshl_add_u64 v[22:23], v[58:59], 4, s[2:3]
	ds_read_b128 v[0:3], v13
	ds_read_b128 v[8:11], v12 offset:13728
	global_load_dwordx4 v[22:25], v[22:23], off
	v_mov_b32_e32 v61, v57
	v_lshl_add_u32 v30, v64, 4, v155
	s_waitcnt lgkmcnt(0)
	v_add_f64 v[26:27], v[0:1], v[8:9]
	v_add_f64 v[0:1], v[0:1], -v[8:9]
	v_add_f64 v[28:29], v[2:3], v[10:11]
	v_add_f64 v[2:3], v[2:3], -v[10:11]
	v_mul_f64 v[0:1], v[0:1], 0.5
	v_mul_f64 v[8:9], v[28:29], 0.5
	;; [unrolled: 1-line block ×3, first 2 shown]
	s_waitcnt vmcnt(3)
	v_mul_f64 v[10:11], v[0:1], v[6:7]
	v_fma_f64 v[28:29], v[8:9], v[6:7], v[2:3]
	v_fma_f64 v[2:3], v[8:9], v[6:7], -v[2:3]
	v_fma_f64 v[6:7], 0.5, v[26:27], v[10:11]
	v_fma_f64 v[28:29], -v[4:5], v[0:1], v[28:29]
	v_fma_f64 v[10:11], v[26:27], 0.5, -v[10:11]
	v_fmac_f64_e32 v[6:7], v[8:9], v[4:5]
	v_fma_f64 v[2:3], -v[4:5], v[0:1], v[2:3]
	v_fma_f64 v[0:1], -v[8:9], v[4:5], v[10:11]
	ds_write2_b64 v13, v[6:7], v[28:29] offset1:1
	ds_write_b128 v12, v[0:3] offset:13728
	v_lshl_add_u64 v[8:9], v[60:61], 4, s[2:3]
	ds_read_b128 v[0:3], v30
	ds_read_b128 v[4:7], v12 offset:12480
	global_load_dwordx4 v[8:11], v[8:9], off
	v_lshl_add_u32 v13, v62, 4, v155
	s_waitcnt lgkmcnt(0)
	v_add_f64 v[26:27], v[0:1], v[4:5]
	v_add_f64 v[0:1], v[0:1], -v[4:5]
	v_add_f64 v[28:29], v[2:3], v[6:7]
	v_add_f64 v[2:3], v[2:3], -v[6:7]
	v_mul_f64 v[0:1], v[0:1], 0.5
	v_mul_f64 v[4:5], v[28:29], 0.5
	v_mul_f64 v[2:3], v[2:3], 0.5
	s_waitcnt vmcnt(3)
	v_mul_f64 v[6:7], v[0:1], v[16:17]
	v_fma_f64 v[28:29], v[4:5], v[16:17], v[2:3]
	v_fma_f64 v[2:3], v[4:5], v[16:17], -v[2:3]
	v_fma_f64 v[16:17], 0.5, v[26:27], v[6:7]
	v_fma_f64 v[28:29], -v[14:15], v[0:1], v[28:29]
	v_fma_f64 v[6:7], v[26:27], 0.5, -v[6:7]
	v_fmac_f64_e32 v[16:17], v[4:5], v[14:15]
	v_fma_f64 v[2:3], -v[14:15], v[0:1], v[2:3]
	v_fma_f64 v[0:1], -v[4:5], v[14:15], v[6:7]
	ds_write2_b64 v30, v[16:17], v[28:29] offset1:1
	ds_write_b128 v12, v[0:3] offset:12480
	ds_read_b128 v[0:3], v13
	ds_read_b128 v[4:7], v12 offset:11232
	v_lshl_add_u32 v26, v58, 4, v155
	s_waitcnt lgkmcnt(0)
	v_add_f64 v[14:15], v[0:1], v[4:5]
	v_add_f64 v[0:1], v[0:1], -v[4:5]
	v_add_f64 v[16:17], v[2:3], v[6:7]
	v_add_f64 v[2:3], v[2:3], -v[6:7]
	v_mul_f64 v[0:1], v[0:1], 0.5
	v_mul_f64 v[4:5], v[16:17], 0.5
	;; [unrolled: 1-line block ×3, first 2 shown]
	s_waitcnt vmcnt(2)
	v_mul_f64 v[6:7], v[0:1], v[20:21]
	v_fma_f64 v[16:17], v[4:5], v[20:21], v[2:3]
	v_fma_f64 v[2:3], v[4:5], v[20:21], -v[2:3]
	v_fma_f64 v[20:21], 0.5, v[14:15], v[6:7]
	v_fma_f64 v[16:17], -v[18:19], v[0:1], v[16:17]
	v_fma_f64 v[6:7], v[14:15], 0.5, -v[6:7]
	v_fmac_f64_e32 v[20:21], v[4:5], v[18:19]
	v_fma_f64 v[2:3], -v[18:19], v[0:1], v[2:3]
	v_fma_f64 v[0:1], -v[4:5], v[18:19], v[6:7]
	ds_write2_b64 v13, v[20:21], v[16:17] offset1:1
	ds_write_b128 v12, v[0:3] offset:11232
	ds_read_b128 v[0:3], v26
	ds_read_b128 v[4:7], v12 offset:9984
	v_lshl_add_u32 v13, v60, 4, v155
	s_waitcnt lgkmcnt(0)
	v_add_f64 v[14:15], v[0:1], v[4:5]
	v_add_f64 v[0:1], v[0:1], -v[4:5]
	v_add_f64 v[16:17], v[2:3], v[6:7]
	v_add_f64 v[2:3], v[2:3], -v[6:7]
	v_mul_f64 v[0:1], v[0:1], 0.5
	v_mul_f64 v[4:5], v[16:17], 0.5
	;; [unrolled: 1-line block ×3, first 2 shown]
	s_waitcnt vmcnt(1)
	v_mul_f64 v[6:7], v[0:1], v[24:25]
	v_fma_f64 v[16:17], v[4:5], v[24:25], v[2:3]
	v_fma_f64 v[18:19], 0.5, v[14:15], v[6:7]
	v_fma_f64 v[2:3], v[4:5], v[24:25], -v[2:3]
	v_fma_f64 v[16:17], -v[22:23], v[0:1], v[16:17]
	v_fma_f64 v[6:7], v[14:15], 0.5, -v[6:7]
	v_fmac_f64_e32 v[18:19], v[4:5], v[22:23]
	v_fma_f64 v[2:3], -v[22:23], v[0:1], v[2:3]
	v_fma_f64 v[0:1], -v[4:5], v[22:23], v[6:7]
	ds_write2_b64 v26, v[18:19], v[16:17] offset1:1
	ds_write_b128 v12, v[0:3] offset:9984
	ds_read_b128 v[0:3], v13
	ds_read_b128 v[4:7], v12 offset:8736
	s_waitcnt lgkmcnt(0)
	v_add_f64 v[14:15], v[0:1], v[4:5]
	v_add_f64 v[0:1], v[0:1], -v[4:5]
	v_add_f64 v[16:17], v[2:3], v[6:7]
	v_add_f64 v[2:3], v[2:3], -v[6:7]
	v_mul_f64 v[0:1], v[0:1], 0.5
	v_mul_f64 v[4:5], v[16:17], 0.5
	;; [unrolled: 1-line block ×3, first 2 shown]
	s_waitcnt vmcnt(0)
	v_mul_f64 v[6:7], v[0:1], v[10:11]
	v_fma_f64 v[16:17], v[4:5], v[10:11], v[2:3]
	v_fma_f64 v[2:3], v[4:5], v[10:11], -v[2:3]
	v_fma_f64 v[10:11], 0.5, v[14:15], v[6:7]
	v_fma_f64 v[16:17], -v[8:9], v[0:1], v[16:17]
	v_fma_f64 v[6:7], v[14:15], 0.5, -v[6:7]
	v_fmac_f64_e32 v[10:11], v[4:5], v[8:9]
	v_fma_f64 v[2:3], -v[8:9], v[0:1], v[2:3]
	v_fma_f64 v[0:1], -v[4:5], v[8:9], v[6:7]
	ds_write2_b64 v13, v[10:11], v[16:17] offset1:1
	ds_write_b128 v12, v[0:3] offset:8736
	s_waitcnt lgkmcnt(0)
	s_barrier
	s_and_saveexec_b64 s[2:3], s[0:1]
	s_cbranch_execz .LBB0_23
; %bb.21:
	ds_read_b128 v[0:3], v154
	ds_read_b128 v[4:7], v154 offset:1248
	ds_read_b128 v[8:11], v154 offset:2496
	;; [unrolled: 1-line block ×3, first 2 shown]
	v_mov_b32_e32 v53, v57
	v_lshl_add_u64 v[16:17], v[52:53], 4, v[54:55]
	s_movk_i32 s0, 0x4d
	s_waitcnt lgkmcnt(3)
	global_store_dwordx4 v[16:17], v[0:3], off
	s_waitcnt lgkmcnt(2)
	global_store_dwordx4 v[16:17], v[4:7], off offset:1248
	s_waitcnt lgkmcnt(1)
	global_store_dwordx4 v[16:17], v[8:11], off offset:2496
	;; [unrolled: 2-line block ×3, first 2 shown]
	ds_read_b128 v[0:3], v154 offset:4992
	ds_read_b128 v[4:7], v154 offset:6240
	;; [unrolled: 1-line block ×3, first 2 shown]
	v_add_co_u32_e32 v12, vcc, 0x1000, v16
	s_nop 1
	v_addc_co_u32_e32 v13, vcc, 0, v17, vcc
	s_waitcnt lgkmcnt(2)
	global_store_dwordx4 v[12:13], v[0:3], off offset:896
	s_waitcnt lgkmcnt(1)
	global_store_dwordx4 v[12:13], v[4:7], off offset:2144
	;; [unrolled: 2-line block ×3, first 2 shown]
	ds_read_b128 v[0:3], v154 offset:8736
	ds_read_b128 v[4:7], v154 offset:9984
	ds_read_b128 v[8:11], v154 offset:11232
	v_add_co_u32_e32 v12, vcc, 0x2000, v16
	s_nop 1
	v_addc_co_u32_e32 v13, vcc, 0, v17, vcc
	s_waitcnt lgkmcnt(2)
	global_store_dwordx4 v[12:13], v[0:3], off offset:544
	s_waitcnt lgkmcnt(1)
	global_store_dwordx4 v[12:13], v[4:7], off offset:1792
	;; [unrolled: 2-line block ×3, first 2 shown]
	ds_read_b128 v[0:3], v154 offset:12480
	ds_read_b128 v[4:7], v154 offset:13728
	v_add_co_u32_e32 v8, vcc, 0x3000, v16
	s_nop 1
	v_addc_co_u32_e32 v9, vcc, 0, v17, vcc
	v_cmp_eq_u32_e32 vcc, s0, v52
	s_waitcnt lgkmcnt(1)
	global_store_dwordx4 v[8:9], v[0:3], off offset:192
	s_waitcnt lgkmcnt(0)
	global_store_dwordx4 v[8:9], v[4:7], off offset:1440
	s_and_b64 exec, exec, vcc
	s_cbranch_execz .LBB0_23
; %bb.22:
	ds_read_b128 v[0:3], v154 offset:13744
	v_add_co_u32_e32 v4, vcc, 0x3000, v54
	s_nop 1
	v_addc_co_u32_e32 v5, vcc, 0, v55, vcc
	s_waitcnt lgkmcnt(0)
	global_store_dwordx4 v[4:5], v[0:3], off offset:2688
.LBB0_23:
	s_endpgm
	.section	.rodata,"a",@progbits
	.p2align	6, 0x0
	.amdhsa_kernel fft_rtc_back_len936_factors_2_2_13_2_3_3_wgs_234_tpt_78_halfLds_dp_ip_CI_unitstride_sbrr_R2C_dirReg
		.amdhsa_group_segment_fixed_size 0
		.amdhsa_private_segment_fixed_size 0
		.amdhsa_kernarg_size 88
		.amdhsa_user_sgpr_count 2
		.amdhsa_user_sgpr_dispatch_ptr 0
		.amdhsa_user_sgpr_queue_ptr 0
		.amdhsa_user_sgpr_kernarg_segment_ptr 1
		.amdhsa_user_sgpr_dispatch_id 0
		.amdhsa_user_sgpr_kernarg_preload_length 0
		.amdhsa_user_sgpr_kernarg_preload_offset 0
		.amdhsa_user_sgpr_private_segment_size 0
		.amdhsa_uses_dynamic_stack 0
		.amdhsa_enable_private_segment 0
		.amdhsa_system_sgpr_workgroup_id_x 1
		.amdhsa_system_sgpr_workgroup_id_y 0
		.amdhsa_system_sgpr_workgroup_id_z 0
		.amdhsa_system_sgpr_workgroup_info 0
		.amdhsa_system_vgpr_workitem_id 0
		.amdhsa_next_free_vgpr 190
		.amdhsa_next_free_sgpr 40
		.amdhsa_accum_offset 192
		.amdhsa_reserve_vcc 1
		.amdhsa_float_round_mode_32 0
		.amdhsa_float_round_mode_16_64 0
		.amdhsa_float_denorm_mode_32 3
		.amdhsa_float_denorm_mode_16_64 3
		.amdhsa_dx10_clamp 1
		.amdhsa_ieee_mode 1
		.amdhsa_fp16_overflow 0
		.amdhsa_tg_split 0
		.amdhsa_exception_fp_ieee_invalid_op 0
		.amdhsa_exception_fp_denorm_src 0
		.amdhsa_exception_fp_ieee_div_zero 0
		.amdhsa_exception_fp_ieee_overflow 0
		.amdhsa_exception_fp_ieee_underflow 0
		.amdhsa_exception_fp_ieee_inexact 0
		.amdhsa_exception_int_div_zero 0
	.end_amdhsa_kernel
	.text
.Lfunc_end0:
	.size	fft_rtc_back_len936_factors_2_2_13_2_3_3_wgs_234_tpt_78_halfLds_dp_ip_CI_unitstride_sbrr_R2C_dirReg, .Lfunc_end0-fft_rtc_back_len936_factors_2_2_13_2_3_3_wgs_234_tpt_78_halfLds_dp_ip_CI_unitstride_sbrr_R2C_dirReg
                                        ; -- End function
	.section	.AMDGPU.csdata,"",@progbits
; Kernel info:
; codeLenInByte = 11820
; NumSgprs: 46
; NumVgprs: 190
; NumAgprs: 0
; TotalNumVgprs: 190
; ScratchSize: 0
; MemoryBound: 0
; FloatMode: 240
; IeeeMode: 1
; LDSByteSize: 0 bytes/workgroup (compile time only)
; SGPRBlocks: 5
; VGPRBlocks: 23
; NumSGPRsForWavesPerEU: 46
; NumVGPRsForWavesPerEU: 190
; AccumOffset: 192
; Occupancy: 2
; WaveLimiterHint : 1
; COMPUTE_PGM_RSRC2:SCRATCH_EN: 0
; COMPUTE_PGM_RSRC2:USER_SGPR: 2
; COMPUTE_PGM_RSRC2:TRAP_HANDLER: 0
; COMPUTE_PGM_RSRC2:TGID_X_EN: 1
; COMPUTE_PGM_RSRC2:TGID_Y_EN: 0
; COMPUTE_PGM_RSRC2:TGID_Z_EN: 0
; COMPUTE_PGM_RSRC2:TIDIG_COMP_CNT: 0
; COMPUTE_PGM_RSRC3_GFX90A:ACCUM_OFFSET: 47
; COMPUTE_PGM_RSRC3_GFX90A:TG_SPLIT: 0
	.text
	.p2alignl 6, 3212836864
	.fill 256, 4, 3212836864
	.type	__hip_cuid_2f5be96697c3ced6,@object ; @__hip_cuid_2f5be96697c3ced6
	.section	.bss,"aw",@nobits
	.globl	__hip_cuid_2f5be96697c3ced6
__hip_cuid_2f5be96697c3ced6:
	.byte	0                               ; 0x0
	.size	__hip_cuid_2f5be96697c3ced6, 1

	.ident	"AMD clang version 19.0.0git (https://github.com/RadeonOpenCompute/llvm-project roc-6.4.0 25133 c7fe45cf4b819c5991fe208aaa96edf142730f1d)"
	.section	".note.GNU-stack","",@progbits
	.addrsig
	.addrsig_sym __hip_cuid_2f5be96697c3ced6
	.amdgpu_metadata
---
amdhsa.kernels:
  - .agpr_count:     0
    .args:
      - .actual_access:  read_only
        .address_space:  global
        .offset:         0
        .size:           8
        .value_kind:     global_buffer
      - .offset:         8
        .size:           8
        .value_kind:     by_value
      - .actual_access:  read_only
        .address_space:  global
        .offset:         16
        .size:           8
        .value_kind:     global_buffer
      - .actual_access:  read_only
        .address_space:  global
        .offset:         24
        .size:           8
        .value_kind:     global_buffer
      - .offset:         32
        .size:           8
        .value_kind:     by_value
      - .actual_access:  read_only
        .address_space:  global
        .offset:         40
        .size:           8
        .value_kind:     global_buffer
      - .actual_access:  read_only
        .address_space:  global
        .offset:         48
        .size:           8
        .value_kind:     global_buffer
      - .offset:         56
        .size:           4
        .value_kind:     by_value
      - .actual_access:  read_only
        .address_space:  global
        .offset:         64
        .size:           8
        .value_kind:     global_buffer
      - .actual_access:  read_only
        .address_space:  global
        .offset:         72
        .size:           8
        .value_kind:     global_buffer
      - .address_space:  global
        .offset:         80
        .size:           8
        .value_kind:     global_buffer
    .group_segment_fixed_size: 0
    .kernarg_segment_align: 8
    .kernarg_segment_size: 88
    .language:       OpenCL C
    .language_version:
      - 2
      - 0
    .max_flat_workgroup_size: 234
    .name:           fft_rtc_back_len936_factors_2_2_13_2_3_3_wgs_234_tpt_78_halfLds_dp_ip_CI_unitstride_sbrr_R2C_dirReg
    .private_segment_fixed_size: 0
    .sgpr_count:     46
    .sgpr_spill_count: 0
    .symbol:         fft_rtc_back_len936_factors_2_2_13_2_3_3_wgs_234_tpt_78_halfLds_dp_ip_CI_unitstride_sbrr_R2C_dirReg.kd
    .uniform_work_group_size: 1
    .uses_dynamic_stack: false
    .vgpr_count:     190
    .vgpr_spill_count: 0
    .wavefront_size: 64
amdhsa.target:   amdgcn-amd-amdhsa--gfx950
amdhsa.version:
  - 1
  - 2
...

	.end_amdgpu_metadata
